;; amdgpu-corpus repo=ROCm/aiter kind=harvested arch=n/a opt=n/a

/root/src/amdgpu-assembly/repos/ROCm__aiter/hsa/gfx950/mla/mla_dec_stage1_bf16_a16w16_subQ128_mqa128.co:	file format elf64-amdgpu

Disassembly of section .text:

0000000000001000 <_ZN5aiter41mla_dec_stage1_bf16_a16w16_subQ128_mqa128E>:
	s_and_b32 s1, s1, 0xffff                                   // 000000001000: 8601FF01 0000FFFF
	s_load_dwordx2 s[8:9], s[0:1], 0x0                         // 000000001008: C0060200 00000000
	s_load_dwordx2 s[12:13], s[0:1], 0x10                      // 000000001010: C0060300 00000010
	s_load_dwordx2 s[16:17], s[0:1], 0x20                      // 000000001018: C0060400 00000020
	s_load_dwordx2 s[20:21], s[0:1], 0x30                      // 000000001020: C0060500 00000030
	s_load_dwordx2 s[28:29], s[0:1], 0x40                      // 000000001028: C0060700 00000040
	s_load_dwordx2 s[24:25], s[0:1], 0x50                      // 000000001030: C0060600 00000050
	s_load_dwordx2 s[30:31], s[0:1], 0x60                      // 000000001038: C0060780 00000060
	s_load_dword s64, s[0:1], 0x70                             // 000000001040: C0021000 00000070
	s_load_dword s65, s[0:1], 0x80                             // 000000001048: C0021040 00000080
	s_load_dword s67, s[0:1], 0x90                             // 000000001050: C00210C0 00000090
	s_load_dword s66, s[0:1], 0xa0                             // 000000001058: C0021080 000000A0
	s_load_dword s68, s[0:1], 0xb0                             // 000000001060: C0021100 000000B0
	s_load_dword s69, s[0:1], 0xc0                             // 000000001068: C0021140 000000C0
	s_load_dwordx2 s[32:33], s[0:1], 0xd0                      // 000000001070: C0060800 000000D0
	v_lshrrev_b32_e32 v1, 10, v0                               // 000000001078: 2002008A
	v_lshrrev_b32_e32 v2, 10, v1                               // 00000000107C: 2004028A
	v_and_b32_e32 v2, 0x3ff, v2                                // 000000001080: 260404FF 000003FF
	v_and_b32_e32 v1, 0x3ff, v1                                // 000000001088: 260202FF 000003FF
	v_and_b32_e32 v0, 0x3ff, v0                                // 000000001090: 260000FF 000003FF
	v_lshrrev_b32_e32 v3, 6, v0                                // 000000001098: 20060086
	v_and_b32_e32 v0, 63, v0                                   // 00000000109C: 260000BF
	s_mov_b32 s2, s2                                           // 0000000010A0: BE820002
	s_mov_b32 s3, s3                                           // 0000000010A4: BE830003
	s_mov_b32 s4, s4                                           // 0000000010A8: BE840004
	v_readfirstlane_b32 s7, v3                                 // 0000000010AC: 7E0E0503
	s_waitcnt lgkmcnt(0)                                       // 0000000010B0: BF8CC07F
	s_mov_b32 s65, 0x80                                        // 0000000010B4: BEC100FF 00000080
	s_mul_i32 s56, s3, 4                                       // 0000000010BC: 92388403
	s_and_b32 s29, s29, 0xffff                                 // 0000000010C0: 861DFF1D 0000FFFF
	s_and_b32 s31, s31, 0xffff                                 // 0000000010C8: 861FFF1F 0000FFFF
	s_add_u32 s28, s56, s28                                    // 0000000010D0: 801C1C38
	s_addc_u32 s29, 0, s29                                     // 0000000010D4: 821D1D80
	s_load_dword s47, s[28:29], 0x0                            // 0000000010D8: C0020BCE 00000000
	s_load_dword s46, s[28:29], 0x4                            // 0000000010E0: C0020B8E 00000004
	s_mul_i32 s56, s3, 4                                       // 0000000010E8: 92388403
	s_and_b32 s33, s33, 0xffff                                 // 0000000010EC: 8621FF21 0000FFFF
	s_add_u32 s32, s56, s32                                    // 0000000010F4: 80202038
	s_addc_u32 s33, 0, s33                                     // 0000000010F8: 82212180
	s_load_dword s79, s[32:33], 0x0                            // 0000000010FC: C00213D0 00000000
	s_load_dword s78, s[32:33], 0x4                            // 000000001104: C0021390 00000004
	s_mul_i32 s75, 0x800, s65                                  // 00000000110C: 924B41FF 00000800
	s_mul_i32 s74, 0x480, s65                                  // 000000001114: 924A41FF 00000480
	s_mul_i32 s56, 4, s65                                      // 00000000111C: 92384184
	s_mov_b32 s10, s75                                         // 000000001120: BE8A004B
	s_mov_b32 s18, -16                                         // 000000001124: BE9200D0
	s_mov_b32 s14, s56                                         // 000000001128: BE8E0038
	s_mov_b32 s22, -16                                         // 00000000112C: BE9600D0
	s_mov_b32 s26, -16                                         // 000000001130: BE9A00D0
	s_mov_b32 s11, 0x20000                                     // 000000001134: BE8B00FF 00020000
	s_mov_b32 s19, 0x20000                                     // 00000000113C: BE9300FF 00020000
	s_mov_b32 s15, 0x20000                                     // 000000001144: BE8F00FF 00020000
	s_mov_b32 s23, 0x20000                                     // 00000000114C: BE9700FF 00020000
	s_mov_b32 s27, 0x20000                                     // 000000001154: BE9B00FF 00020000
	s_and_b32 s9, s9, 0xffff                                   // 00000000115C: 8609FF09 0000FFFF
	s_and_b32 s17, s17, 0xffff                                 // 000000001164: 8611FF11 0000FFFF
	s_and_b32 s13, s13, 0xffff                                 // 00000000116C: 860DFF0D 0000FFFF
	s_and_b32 s21, s21, 0xffff                                 // 000000001174: 8615FF15 0000FFFF
	s_and_b32 s25, s25, 0xffff                                 // 00000000117C: 8619FF19 0000FFFF
	s_or_b32 s9, s9, 0x40000                                   // 000000001184: 8709FF09 00040000
	s_or_b32 s17, s17, 0x40000                                 // 00000000118C: 8711FF11 00040000
	s_or_b32 s13, s13, 0x40000                                 // 000000001194: 870DFF0D 00040000
	s_or_b32 s21, s21, 0x40000                                 // 00000000119C: 8715FF15 00040000
	s_or_b32 s25, s25, 0x40000                                 // 0000000011A4: 8719FF19 00040000
	s_waitcnt lgkmcnt(0)                                       // 0000000011AC: BF8CC07F
	s_mul_i32 s80, s2, 1                                       // 0000000011B0: 92508102
	s_sub_u32 s81, s78, s79                                    // 0000000011B4: 80D14F4E
	s_cmp_le_u32 s81, s80                                      // 0000000011B8: BF0B5051
	s_cbranch_scc1 label_2E93                                  // 0000000011BC: BF852E23
	s_mov_b32 s69, 0                                           // 0000000011C0: BEC50080
	s_lshr_b32 s44, 16, s69                                    // 0000000011C4: 8F2C4590
	s_mul_i32 s73, s44, 4                                      // 0000000011C8: 9249842C
	s_mul_i32 s73, s73, s67                                    // 0000000011CC: 92494349
	s_mul_i32 s45, s4, s44                                     // 0000000011D0: 922D2C04
	s_sub_u32 s50, s46, s47                                    // 0000000011D4: 80B22F2E
	s_cmp_le_u32 s50, s45                                      // 0000000011D8: BF0B2D32
	s_cbranch_scc1 label_2E93                                  // 0000000011DC: BF852E1B
	s_mul_i32 s56, s50, 4                                      // 0000000011E0: 92388432
	s_mov_b32 s26, s56                                         // 0000000011E4: BE9A0038
	s_mul_i32 s56, s47, 4                                      // 0000000011E8: 9238842F
	s_add_u32 s24, s56, s24                                    // 0000000011EC: 80181838
	s_addc_u32 s25, 0, s25                                     // 0000000011F0: 82191980
	s_mov_b32 s70, 0                                           // 0000000011F4: BEC60080
	s_sub_u32 s71, s50, s45                                    // 0000000011F8: 80C72D32
	s_mul_i32 s39, s67, s44                                    // 0000000011FC: 92272C43
	s_mov_b32 s38, s71                                         // 000000001200: BEA60047
	v_cvt_f32_u32_e32 v20, s39                                 // 000000001204: 7E280C27
	s_sub_i32 s56, 0, s39                                      // 000000001208: 81B82780
	v_rcp_iflag_f32_e32 v20, v20                               // 00000000120C: 7E284714
	s_nop 0                                                    // 000000001210: BF800000
	v_mul_f32_e32 v20, 0x4f7ffffe, v20                         // 000000001214: 0A2828FF 4F7FFFFE
	v_cvt_u32_f32_e32 v20, v20                                 // 00000000121C: 7E280F14
	v_mul_lo_u32 v21, s56, v20                                 // 000000001220: D2850015 00022838
	v_mul_hi_u32 v21, v20, v21                                 // 000000001228: D2860015 00022B14
	v_add_u32_e32 v20, v20, v21                                // 000000001230: 68282B14
	v_mul_hi_u32 v20, s38, v20                                 // 000000001234: D2860014 00022826
	v_mul_lo_u32 v21, v20, s39                                 // 00000000123C: D2850015 00004F14
	v_sub_u32_e32 v23, s38, v21                                // 000000001244: 6A2E2A26
	v_add_u32_e32 v22, 1, v20                                  // 000000001248: 682C2881
	v_cmp_le_u32_e32 vcc, s39, v23                             // 00000000124C: 7D962E27
	v_subrev_u32_e32 v21, s39, v23                             // 000000001250: 6C2A2E27
	s_nop 0                                                    // 000000001254: BF800000
	v_cndmask_b32_e32 v20, v20, v22, vcc                       // 000000001258: 00282D14
	v_cndmask_b32_e32 v23, v23, v21, vcc                       // 00000000125C: 002E2B17
	v_add_u32_e32 v21, 1, v20                                  // 000000001260: 682A2881
	v_cmp_le_u32_e32 vcc, s39, v23                             // 000000001264: 7D962E27
	s_nop 1                                                    // 000000001268: BF800001
	v_cndmask_b32_e32 v23, v20, v21, vcc                       // 00000000126C: 002E2B14
	s_nop 3                                                    // 000000001270: BF800003
	v_readfirstlane_b32 s40, v23                               // 000000001274: 7E500517
	s_nop 3                                                    // 000000001278: BF800003
	s_mov_b32 s71, s40                                         // 00000000127C: BEC70028
	s_mul_i32 s56, s71, s39                                    // 000000001280: 92382747
	s_sub_u32 s56, s38, s56                                    // 000000001284: 80B83826
	s_mov_b32 s57, 0                                           // 000000001288: BEB90080
	s_cmp_lt_u32 s56, s44                                      // 00000000128C: BF0A2C38
	s_cselect_b32 s57, s57, 1                                  // 000000001290: 85398139
	s_add_u32 s71, s57, s71                                    // 000000001294: 80474739
	s_cmpk_eq_u32 s57, 0x1                                     // 000000001298: B4390001
	s_cselect_b32 s49, 0, s56                                  // 00000000129C: 85313880
	s_mov_b32 s48, s49                                         // 0000000012A0: BEB00031
	v_lshrrev_b32_e32 v20, 3, v0                               // 0000000012A4: 20280083
	v_and_b32_e32 v21, 1, v20                                  // 0000000012A8: 262A2881
	v_lshlrev_b32_e32 v8, 3, v21                               // 0000000012AC: 24102A83
	v_and_b32_e32 v20, 4, v20                                  // 0000000012B0: 26282884
	v_add_u32_e32 v8, v8, v20                                  // 0000000012B4: 68102908
	v_add_u32_e64 v8, v8, s7                                   // 0000000012B8: D1340008 00000F08
	v_add_u32_e32 v8, s45, v8                                  // 0000000012C0: 6810102D
	v_lshlrev_b32_e32 v8, 2, v8                                // 0000000012C4: 24101082
	buffer_load_dword v10, v8, s[24:27], 0 offen               // 0000000012C8: E0501000 80060A08
	v_add_u32_e32 v8, s73, v8                                  // 0000000012D0: 68101049
	buffer_load_dword v11, v8, s[24:27], 0 offen               // 0000000012D4: E0501000 80060B08
	v_add_u32_e32 v8, s73, v8                                  // 0000000012DC: 68101049
	s_add_u32 s56, s80, s79                                    // 0000000012E0: 80384F50
	v_mov_b32_e32 v20, s56                                     // 0000000012E4: 7E280238
	v_mul_lo_u32 v21, s74, v20                                 // 0000000012E8: D2850015 0002284A
	v_mul_hi_u32 v22, s74, v20                                 // 0000000012F0: D2860016 0002284A
	s_nop 2                                                    // 0000000012F8: BF800002
	v_readfirstlane_b32 s56, v21                               // 0000000012FC: 7E700515
	v_readfirstlane_b32 s57, v22                               // 000000001300: 7E720516
	s_nop 4                                                    // 000000001304: BF800004
	s_add_u32 s16, s56, s16                                    // 000000001308: 80101038
	s_addc_u32 s17, s57, s17                                   // 00000000130C: 82111139
	s_sub_u32 s56, s81, s80                                    // 000000001310: 80B85051
	s_mul_i32 s56, s56, s74                                    // 000000001314: 92384A38
	s_mov_b32 s18, s56                                         // 000000001318: BE920038
	s_mul_i32 s56, s7, 0x480                                   // 00000000131C: 9238FF07 00000480
	v_lshlrev_b32_e32 v30, 2, v0                               // 000000001324: 243C0082
	v_add_u32_e32 v30, s56, v30                                // 000000001328: 683C3C38
	s_mul_i32 s56, s7, 0x1420                                  // 00000000132C: 9238FF07 00001420
	s_add_u32 s34, 0, s56                                      // 000000001334: 80223880
	s_add_u32 s35, 0x5080, s34                                 // 000000001338: 802322FF 00005080
	s_add_u32 s36, 0x5080, s35                                 // 000000001340: 802423FF 00005080
	v_lshrrev_b32_e32 v20, 4, v0                               // 000000001348: 20280084
	v_lshlrev_b32_e32 v21, 2, v20                              // 00000000134C: 242A2882
	v_and_b32_e32 v20, 15, v0                                  // 000000001350: 2628008F
	v_lshrrev_b32_e32 v22, 2, v20                              // 000000001354: 202C2882
	v_mul_i32_i24_e32 v22, 0x140, v22                          // 000000001358: 0C2C2CFF 00000140
	v_add_u32_e32 v21, v22, v21                                // 000000001360: 682A2B16
	v_and_b32_e32 v20, 3, v0                                   // 000000001364: 26280083
	v_mul_i32_i24_e32 v22, 0x508, v20                          // 000000001368: 0C2C28FF 00000508
	v_add_u32_e32 v21, v22, v21                                // 000000001370: 682A2B16
	v_lshlrev_b32_e32 v29, 2, v21                              // 000000001374: 243A2A82
	s_mov_b32 m0, s34                                          // 000000001378: BEFC0022
	v_add_u32_e32 v28, 0, v30                                  // 00000000137C: 68383C80
	buffer_load_dword v28, s[16:19], 0 offen lds               // 000000001380: E0511000 8004001C
	buffer_load_dword v28, s[16:19], 0 offen offset:256 lds    // 000000001388: E0511100 8004001C
	buffer_load_dword v28, s[16:19], 0 offen offset:512 lds    // 000000001390: E0511200 8004001C
	buffer_load_dword v28, s[16:19], 0 offen offset:768 lds    // 000000001398: E0511300 8004001C
	buffer_load_dword v28, s[16:19], 0 offen offset:1024 lds   // 0000000013A0: E0511400 8004001C
	s_add_u32 m0, m0, 0x500                                    // 0000000013A8: 807CFF7C 00000500
	v_add_u32_e32 v28, 0x1200, v28                             // 0000000013B0: 683838FF 00001200
	buffer_load_dword v28, s[16:19], 0 offen lds               // 0000000013B8: E0511000 8004001C
	buffer_load_dword v28, s[16:19], 0 offen offset:256 lds    // 0000000013C0: E0511100 8004001C
	buffer_load_dword v28, s[16:19], 0 offen offset:512 lds    // 0000000013C8: E0511200 8004001C
	buffer_load_dword v28, s[16:19], 0 offen offset:768 lds    // 0000000013D0: E0511300 8004001C
	buffer_load_dword v28, s[16:19], 0 offen offset:1024 lds   // 0000000013D8: E0511400 8004001C
	s_add_u32 m0, m0, 0x500                                    // 0000000013E0: 807CFF7C 00000500
	v_add_u32_e32 v28, 0x1200, v28                             // 0000000013E8: 683838FF 00001200
	buffer_load_dword v28, s[16:19], 0 offen lds               // 0000000013F0: E0511000 8004001C
	buffer_load_dword v28, s[16:19], 0 offen offset:256 lds    // 0000000013F8: E0511100 8004001C
	buffer_load_dword v28, s[16:19], 0 offen offset:512 lds    // 000000001400: E0511200 8004001C
	buffer_load_dword v28, s[16:19], 0 offen offset:768 lds    // 000000001408: E0511300 8004001C
	buffer_load_dword v28, s[16:19], 0 offen offset:1024 lds   // 000000001410: E0511400 8004001C
	s_add_u32 m0, m0, 0x500                                    // 000000001418: 807CFF7C 00000500
	v_add_u32_e32 v28, 0x1200, v28                             // 000000001420: 683838FF 00001200
	buffer_load_dword v28, s[16:19], 0 offen lds               // 000000001428: E0511000 8004001C
	buffer_load_dword v28, s[16:19], 0 offen offset:256 lds    // 000000001430: E0511100 8004001C
	buffer_load_dword v28, s[16:19], 0 offen offset:512 lds    // 000000001438: E0511200 8004001C
	buffer_load_dword v28, s[16:19], 0 offen offset:768 lds    // 000000001440: E0511300 8004001C
	buffer_load_dword v28, s[16:19], 0 offen offset:1024 lds   // 000000001448: E0511400 8004001C
	s_add_u32 m0, m0, 0x500                                    // 000000001450: 807CFF7C 00000500
	v_add_u32_e32 v28, 0x1200, v28                             // 000000001458: 683838FF 00001200
	s_mov_b32 m0, s35                                          // 000000001460: BEFC0023
	v_add_u32_e32 v28, 0x4800, v30                             // 000000001464: 68383CFF 00004800
	buffer_load_dword v28, s[16:19], 0 offen lds               // 00000000146C: E0511000 8004001C
	buffer_load_dword v28, s[16:19], 0 offen offset:256 lds    // 000000001474: E0511100 8004001C
	buffer_load_dword v28, s[16:19], 0 offen offset:512 lds    // 00000000147C: E0511200 8004001C
	buffer_load_dword v28, s[16:19], 0 offen offset:768 lds    // 000000001484: E0511300 8004001C
	buffer_load_dword v28, s[16:19], 0 offen offset:1024 lds   // 00000000148C: E0511400 8004001C
	s_add_u32 m0, m0, 0x500                                    // 000000001494: 807CFF7C 00000500
	v_add_u32_e32 v28, 0x1200, v28                             // 00000000149C: 683838FF 00001200
	buffer_load_dword v28, s[16:19], 0 offen lds               // 0000000014A4: E0511000 8004001C
	buffer_load_dword v28, s[16:19], 0 offen offset:256 lds    // 0000000014AC: E0511100 8004001C
	buffer_load_dword v28, s[16:19], 0 offen offset:512 lds    // 0000000014B4: E0511200 8004001C
	buffer_load_dword v28, s[16:19], 0 offen offset:768 lds    // 0000000014BC: E0511300 8004001C
	buffer_load_dword v28, s[16:19], 0 offen offset:1024 lds   // 0000000014C4: E0511400 8004001C
	s_add_u32 m0, m0, 0x500                                    // 0000000014CC: 807CFF7C 00000500
	v_add_u32_e32 v28, 0x1200, v28                             // 0000000014D4: 683838FF 00001200
	buffer_load_dword v28, s[16:19], 0 offen lds               // 0000000014DC: E0511000 8004001C
	buffer_load_dword v28, s[16:19], 0 offen offset:256 lds    // 0000000014E4: E0511100 8004001C
	buffer_load_dword v28, s[16:19], 0 offen offset:512 lds    // 0000000014EC: E0511200 8004001C
	buffer_load_dword v28, s[16:19], 0 offen offset:768 lds    // 0000000014F4: E0511300 8004001C
	buffer_load_dword v28, s[16:19], 0 offen offset:1024 lds   // 0000000014FC: E0511400 8004001C
	s_add_u32 m0, m0, 0x500                                    // 000000001504: 807CFF7C 00000500
	v_add_u32_e32 v28, 0x1200, v28                             // 00000000150C: 683838FF 00001200
	buffer_load_dword v28, s[16:19], 0 offen lds               // 000000001514: E0511000 8004001C
	buffer_load_dword v28, s[16:19], 0 offen offset:256 lds    // 00000000151C: E0511100 8004001C
	buffer_load_dword v28, s[16:19], 0 offen offset:512 lds    // 000000001524: E0511200 8004001C
	buffer_load_dword v28, s[16:19], 0 offen offset:768 lds    // 00000000152C: E0511300 8004001C
	buffer_load_dword v28, s[16:19], 0 offen offset:1024 lds   // 000000001534: E0511400 8004001C
	s_add_u32 m0, m0, 0x500                                    // 00000000153C: 807CFF7C 00000500
	v_add_u32_e32 v28, 0x1200, v28                             // 000000001544: 683838FF 00001200
	s_waitcnt vmcnt(20)                                        // 00000000154C: BF8C4F74
	s_barrier                                                  // 000000001550: BF8A0000
	s_mov_b32 m0, s36                                          // 000000001554: BEFC0024
	v_add_u32_e32 v28, 0x9000, v30                             // 000000001558: 68383CFF 00009000
	buffer_load_dword v28, s[16:19], 0 offen lds               // 000000001560: E0511000 8004001C
	buffer_load_dword v28, s[16:19], 0 offen offset:256 lds    // 000000001568: E0511100 8004001C
	buffer_load_dword v28, s[16:19], 0 offen offset:512 lds    // 000000001570: E0511200 8004001C
	buffer_load_dword v28, s[16:19], 0 offen offset:768 lds    // 000000001578: E0511300 8004001C
	buffer_load_dword v28, s[16:19], 0 offen offset:1024 lds   // 000000001580: E0511400 8004001C
	s_add_u32 m0, m0, 0x500                                    // 000000001588: 807CFF7C 00000500
	v_add_u32_e32 v28, 0x1200, v28                             // 000000001590: 683838FF 00001200
	buffer_load_dword v28, s[16:19], 0 offen lds               // 000000001598: E0511000 8004001C
	buffer_load_dword v28, s[16:19], 0 offen offset:256 lds    // 0000000015A0: E0511100 8004001C
	buffer_load_dword v28, s[16:19], 0 offen offset:512 lds    // 0000000015A8: E0511200 8004001C
	buffer_load_dword v28, s[16:19], 0 offen offset:768 lds    // 0000000015B0: E0511300 8004001C
	buffer_load_dword v28, s[16:19], 0 offen offset:1024 lds   // 0000000015B8: E0511400 8004001C
	s_add_u32 m0, m0, 0x500                                    // 0000000015C0: 807CFF7C 00000500
	v_add_u32_e32 v28, 0x1200, v28                             // 0000000015C8: 683838FF 00001200
	buffer_load_dword v28, s[16:19], 0 offen lds               // 0000000015D0: E0511000 8004001C
	buffer_load_dword v28, s[16:19], 0 offen offset:256 lds    // 0000000015D8: E0511100 8004001C
	buffer_load_dword v28, s[16:19], 0 offen offset:512 lds    // 0000000015E0: E0511200 8004001C
	buffer_load_dword v28, s[16:19], 0 offen offset:768 lds    // 0000000015E8: E0511300 8004001C
	buffer_load_dword v28, s[16:19], 0 offen offset:1024 lds   // 0000000015F0: E0511400 8004001C
	s_add_u32 m0, m0, 0x500                                    // 0000000015F8: 807CFF7C 00000500
	v_add_u32_e32 v28, 0x1200, v28                             // 000000001600: 683838FF 00001200
	buffer_load_dword v28, s[16:19], 0 offen lds               // 000000001608: E0511000 8004001C
	buffer_load_dword v28, s[16:19], 0 offen offset:256 lds    // 000000001610: E0511100 8004001C
	buffer_load_dword v28, s[16:19], 0 offen offset:512 lds    // 000000001618: E0511200 8004001C
	buffer_load_dword v28, s[16:19], 0 offen offset:768 lds    // 000000001620: E0511300 8004001C
	buffer_load_dword v28, s[16:19], 0 offen offset:1024 lds   // 000000001628: E0511400 8004001C
	s_add_u32 m0, m0, 0x500                                    // 000000001630: 807CFF7C 00000500
	v_add_u32_e32 v28, 0x1200, v28                             // 000000001638: 683838FF 00001200
	s_cmp_eq_i32 s7, 0                                         // 000000001640: BF008007
	s_cbranch_scc0 label_01B7                                  // 000000001644: BF840025
	ds_read_b128 a[0:3], v29                                   // 000000001648: DBFE0000 0000001D
	ds_read_b128 a[4:7], v29 offset:64                         // 000000001650: DBFE0040 0400001D
	ds_read_b128 a[8:11], v29 offset:128                       // 000000001658: DBFE0080 0800001D
	ds_read_b128 a[12:15], v29 offset:192                      // 000000001660: DBFE00C0 0C00001D
	ds_read_b128 a[16:19], v29 offset:256                      // 000000001668: DBFE0100 1000001D
	ds_read_b128 a[20:23], v29 offset:320                      // 000000001670: DBFE0140 1400001D
	ds_read_b128 a[24:27], v29 offset:384                      // 000000001678: DBFE0180 1800001D
	ds_read_b128 a[28:31], v29 offset:448                      // 000000001680: DBFE01C0 1C00001D
	ds_read_b128 a[32:35], v29 offset:512                      // 000000001688: DBFE0200 2000001D
	ds_read_b128 a[36:39], v29 offset:576                      // 000000001690: DBFE0240 2400001D
	ds_read_b128 a[40:43], v29 offset:640                      // 000000001698: DBFE0280 2800001D
	ds_read_b128 a[44:47], v29 offset:704                      // 0000000016A0: DBFE02C0 2C00001D
	ds_read_b128 a[48:51], v29 offset:768                      // 0000000016A8: DBFE0300 3000001D
	ds_read_b128 a[52:55], v29 offset:832                      // 0000000016B0: DBFE0340 3400001D
	ds_read_b128 a[56:59], v29 offset:896                      // 0000000016B8: DBFE0380 3800001D
	ds_read_b128 a[60:63], v29 offset:960                      // 0000000016C0: DBFE03C0 3C00001D
	ds_read_b128 a[64:67], v29 offset:1024                     // 0000000016C8: DBFE0400 4000001D
	ds_read_b128 a[68:71], v29 offset:1088                     // 0000000016D0: DBFE0440 4400001D
	s_waitcnt lgkmcnt(0)                                       // 0000000016D8: BF8CC07F

00000000000016dc <label_01B7>:
	s_waitcnt vmcnt(20)                                        // 0000000016DC: BF8C4F74
	s_barrier                                                  // 0000000016E0: BF8A0000
	s_mov_b32 m0, s34                                          // 0000000016E4: BEFC0022
	v_add_u32_e32 v28, 0xd800, v30                             // 0000000016E8: 68383CFF 0000D800
	buffer_load_dword v28, s[16:19], 0 offen lds               // 0000000016F0: E0511000 8004001C
	buffer_load_dword v28, s[16:19], 0 offen offset:256 lds    // 0000000016F8: E0511100 8004001C
	buffer_load_dword v28, s[16:19], 0 offen offset:512 lds    // 000000001700: E0511200 8004001C
	buffer_load_dword v28, s[16:19], 0 offen offset:768 lds    // 000000001708: E0511300 8004001C
	buffer_load_dword v28, s[16:19], 0 offen offset:1024 lds   // 000000001710: E0511400 8004001C
	s_add_u32 m0, m0, 0x500                                    // 000000001718: 807CFF7C 00000500
	v_add_u32_e32 v28, 0x1200, v28                             // 000000001720: 683838FF 00001200
	buffer_load_dword v28, s[16:19], 0 offen lds               // 000000001728: E0511000 8004001C
	buffer_load_dword v28, s[16:19], 0 offen offset:256 lds    // 000000001730: E0511100 8004001C
	buffer_load_dword v28, s[16:19], 0 offen offset:512 lds    // 000000001738: E0511200 8004001C
	buffer_load_dword v28, s[16:19], 0 offen offset:768 lds    // 000000001740: E0511300 8004001C
	buffer_load_dword v28, s[16:19], 0 offen offset:1024 lds   // 000000001748: E0511400 8004001C
	s_add_u32 m0, m0, 0x500                                    // 000000001750: 807CFF7C 00000500
	v_add_u32_e32 v28, 0x1200, v28                             // 000000001758: 683838FF 00001200
	buffer_load_dword v28, s[16:19], 0 offen lds               // 000000001760: E0511000 8004001C
	buffer_load_dword v28, s[16:19], 0 offen offset:256 lds    // 000000001768: E0511100 8004001C
	buffer_load_dword v28, s[16:19], 0 offen offset:512 lds    // 000000001770: E0511200 8004001C
	buffer_load_dword v28, s[16:19], 0 offen offset:768 lds    // 000000001778: E0511300 8004001C
	buffer_load_dword v28, s[16:19], 0 offen offset:1024 lds   // 000000001780: E0511400 8004001C
	s_add_u32 m0, m0, 0x500                                    // 000000001788: 807CFF7C 00000500
	v_add_u32_e32 v28, 0x1200, v28                             // 000000001790: 683838FF 00001200
	buffer_load_dword v28, s[16:19], 0 offen lds               // 000000001798: E0511000 8004001C
	buffer_load_dword v28, s[16:19], 0 offen offset:256 lds    // 0000000017A0: E0511100 8004001C
	buffer_load_dword v28, s[16:19], 0 offen offset:512 lds    // 0000000017A8: E0511200 8004001C
	buffer_load_dword v28, s[16:19], 0 offen offset:768 lds    // 0000000017B0: E0511300 8004001C
	buffer_load_dword v28, s[16:19], 0 offen offset:1024 lds   // 0000000017B8: E0511400 8004001C
	s_add_u32 m0, m0, 0x500                                    // 0000000017C0: 807CFF7C 00000500
	v_add_u32_e32 v28, 0x1200, v28                             // 0000000017C8: 683838FF 00001200
	s_cmp_eq_i32 s7, 1                                         // 0000000017D0: BF008107
	s_cbranch_scc0 label_021B                                  // 0000000017D4: BF840025
	ds_read_b128 a[0:3], v29 offset:20608                      // 0000000017D8: DBFE5080 0000001D
	ds_read_b128 a[4:7], v29 offset:20672                      // 0000000017E0: DBFE50C0 0400001D
	ds_read_b128 a[8:11], v29 offset:20736                     // 0000000017E8: DBFE5100 0800001D
	ds_read_b128 a[12:15], v29 offset:20800                    // 0000000017F0: DBFE5140 0C00001D
	ds_read_b128 a[16:19], v29 offset:20864                    // 0000000017F8: DBFE5180 1000001D
	ds_read_b128 a[20:23], v29 offset:20928                    // 000000001800: DBFE51C0 1400001D
	ds_read_b128 a[24:27], v29 offset:20992                    // 000000001808: DBFE5200 1800001D
	ds_read_b128 a[28:31], v29 offset:21056                    // 000000001810: DBFE5240 1C00001D
	ds_read_b128 a[32:35], v29 offset:21120                    // 000000001818: DBFE5280 2000001D
	ds_read_b128 a[36:39], v29 offset:21184                    // 000000001820: DBFE52C0 2400001D
	ds_read_b128 a[40:43], v29 offset:21248                    // 000000001828: DBFE5300 2800001D
	ds_read_b128 a[44:47], v29 offset:21312                    // 000000001830: DBFE5340 2C00001D
	ds_read_b128 a[48:51], v29 offset:21376                    // 000000001838: DBFE5380 3000001D
	ds_read_b128 a[52:55], v29 offset:21440                    // 000000001840: DBFE53C0 3400001D
	ds_read_b128 a[56:59], v29 offset:21504                    // 000000001848: DBFE5400 3800001D
	ds_read_b128 a[60:63], v29 offset:21568                    // 000000001850: DBFE5440 3C00001D
	ds_read_b128 a[64:67], v29 offset:21632                    // 000000001858: DBFE5480 4000001D
	ds_read_b128 a[68:71], v29 offset:21696                    // 000000001860: DBFE54C0 4400001D
	s_waitcnt lgkmcnt(0)                                       // 000000001868: BF8CC07F

000000000000186c <label_021B>:
	s_waitcnt vmcnt(20)                                        // 00000000186C: BF8C4F74
	s_barrier                                                  // 000000001870: BF8A0000
	s_mov_b32 m0, s35                                          // 000000001874: BEFC0023
	v_add_u32_e32 v28, 0x12000, v30                            // 000000001878: 68383CFF 00012000
	buffer_load_dword v28, s[16:19], 0 offen lds               // 000000001880: E0511000 8004001C
	buffer_load_dword v28, s[16:19], 0 offen offset:256 lds    // 000000001888: E0511100 8004001C
	buffer_load_dword v28, s[16:19], 0 offen offset:512 lds    // 000000001890: E0511200 8004001C
	buffer_load_dword v28, s[16:19], 0 offen offset:768 lds    // 000000001898: E0511300 8004001C
	buffer_load_dword v28, s[16:19], 0 offen offset:1024 lds   // 0000000018A0: E0511400 8004001C
	s_add_u32 m0, m0, 0x500                                    // 0000000018A8: 807CFF7C 00000500
	v_add_u32_e32 v28, 0x1200, v28                             // 0000000018B0: 683838FF 00001200
	buffer_load_dword v28, s[16:19], 0 offen lds               // 0000000018B8: E0511000 8004001C
	buffer_load_dword v28, s[16:19], 0 offen offset:256 lds    // 0000000018C0: E0511100 8004001C
	buffer_load_dword v28, s[16:19], 0 offen offset:512 lds    // 0000000018C8: E0511200 8004001C
	buffer_load_dword v28, s[16:19], 0 offen offset:768 lds    // 0000000018D0: E0511300 8004001C
	buffer_load_dword v28, s[16:19], 0 offen offset:1024 lds   // 0000000018D8: E0511400 8004001C
	s_add_u32 m0, m0, 0x500                                    // 0000000018E0: 807CFF7C 00000500
	v_add_u32_e32 v28, 0x1200, v28                             // 0000000018E8: 683838FF 00001200
	buffer_load_dword v28, s[16:19], 0 offen lds               // 0000000018F0: E0511000 8004001C
	buffer_load_dword v28, s[16:19], 0 offen offset:256 lds    // 0000000018F8: E0511100 8004001C
	buffer_load_dword v28, s[16:19], 0 offen offset:512 lds    // 000000001900: E0511200 8004001C
	buffer_load_dword v28, s[16:19], 0 offen offset:768 lds    // 000000001908: E0511300 8004001C
	buffer_load_dword v28, s[16:19], 0 offen offset:1024 lds   // 000000001910: E0511400 8004001C
	s_add_u32 m0, m0, 0x500                                    // 000000001918: 807CFF7C 00000500
	v_add_u32_e32 v28, 0x1200, v28                             // 000000001920: 683838FF 00001200
	buffer_load_dword v28, s[16:19], 0 offen lds               // 000000001928: E0511000 8004001C
	buffer_load_dword v28, s[16:19], 0 offen offset:256 lds    // 000000001930: E0511100 8004001C
	buffer_load_dword v28, s[16:19], 0 offen offset:512 lds    // 000000001938: E0511200 8004001C
	buffer_load_dword v28, s[16:19], 0 offen offset:768 lds    // 000000001940: E0511300 8004001C
	buffer_load_dword v28, s[16:19], 0 offen offset:1024 lds   // 000000001948: E0511400 8004001C
	s_add_u32 m0, m0, 0x500                                    // 000000001950: 807CFF7C 00000500
	v_add_u32_e32 v28, 0x1200, v28                             // 000000001958: 683838FF 00001200
	s_cmp_eq_i32 s7, 2                                         // 000000001960: BF008207
	s_cbranch_scc0 label_027F                                  // 000000001964: BF840025
	ds_read_b128 a[0:3], v29 offset:41216                      // 000000001968: DBFEA100 0000001D
	ds_read_b128 a[4:7], v29 offset:41280                      // 000000001970: DBFEA140 0400001D
	ds_read_b128 a[8:11], v29 offset:41344                     // 000000001978: DBFEA180 0800001D
	ds_read_b128 a[12:15], v29 offset:41408                    // 000000001980: DBFEA1C0 0C00001D
	ds_read_b128 a[16:19], v29 offset:41472                    // 000000001988: DBFEA200 1000001D
	ds_read_b128 a[20:23], v29 offset:41536                    // 000000001990: DBFEA240 1400001D
	ds_read_b128 a[24:27], v29 offset:41600                    // 000000001998: DBFEA280 1800001D
	ds_read_b128 a[28:31], v29 offset:41664                    // 0000000019A0: DBFEA2C0 1C00001D
	ds_read_b128 a[32:35], v29 offset:41728                    // 0000000019A8: DBFEA300 2000001D
	ds_read_b128 a[36:39], v29 offset:41792                    // 0000000019B0: DBFEA340 2400001D
	ds_read_b128 a[40:43], v29 offset:41856                    // 0000000019B8: DBFEA380 2800001D
	ds_read_b128 a[44:47], v29 offset:41920                    // 0000000019C0: DBFEA3C0 2C00001D
	ds_read_b128 a[48:51], v29 offset:41984                    // 0000000019C8: DBFEA400 3000001D
	ds_read_b128 a[52:55], v29 offset:42048                    // 0000000019D0: DBFEA440 3400001D
	ds_read_b128 a[56:59], v29 offset:42112                    // 0000000019D8: DBFEA480 3800001D
	ds_read_b128 a[60:63], v29 offset:42176                    // 0000000019E0: DBFEA4C0 3C00001D
	ds_read_b128 a[64:67], v29 offset:42240                    // 0000000019E8: DBFEA500 4000001D
	ds_read_b128 a[68:71], v29 offset:42304                    // 0000000019F0: DBFEA540 4400001D
	s_waitcnt lgkmcnt(0)                                       // 0000000019F8: BF8CC07F

00000000000019fc <label_027F>:
	s_waitcnt vmcnt(20)                                        // 0000000019FC: BF8C4F74
	s_barrier                                                  // 000000001A00: BF8A0000
	s_mov_b32 m0, s36                                          // 000000001A04: BEFC0024
	v_add_u32_e32 v28, 0x16800, v30                            // 000000001A08: 68383CFF 00016800
	buffer_load_dword v28, s[16:19], 0 offen lds               // 000000001A10: E0511000 8004001C
	buffer_load_dword v28, s[16:19], 0 offen offset:256 lds    // 000000001A18: E0511100 8004001C
	buffer_load_dword v28, s[16:19], 0 offen offset:512 lds    // 000000001A20: E0511200 8004001C
	buffer_load_dword v28, s[16:19], 0 offen offset:768 lds    // 000000001A28: E0511300 8004001C
	buffer_load_dword v28, s[16:19], 0 offen offset:1024 lds   // 000000001A30: E0511400 8004001C
	s_add_u32 m0, m0, 0x500                                    // 000000001A38: 807CFF7C 00000500
	v_add_u32_e32 v28, 0x1200, v28                             // 000000001A40: 683838FF 00001200
	buffer_load_dword v28, s[16:19], 0 offen lds               // 000000001A48: E0511000 8004001C
	buffer_load_dword v28, s[16:19], 0 offen offset:256 lds    // 000000001A50: E0511100 8004001C
	buffer_load_dword v28, s[16:19], 0 offen offset:512 lds    // 000000001A58: E0511200 8004001C
	buffer_load_dword v28, s[16:19], 0 offen offset:768 lds    // 000000001A60: E0511300 8004001C
	buffer_load_dword v28, s[16:19], 0 offen offset:1024 lds   // 000000001A68: E0511400 8004001C
	s_add_u32 m0, m0, 0x500                                    // 000000001A70: 807CFF7C 00000500
	v_add_u32_e32 v28, 0x1200, v28                             // 000000001A78: 683838FF 00001200
	buffer_load_dword v28, s[16:19], 0 offen lds               // 000000001A80: E0511000 8004001C
	buffer_load_dword v28, s[16:19], 0 offen offset:256 lds    // 000000001A88: E0511100 8004001C
	buffer_load_dword v28, s[16:19], 0 offen offset:512 lds    // 000000001A90: E0511200 8004001C
	buffer_load_dword v28, s[16:19], 0 offen offset:768 lds    // 000000001A98: E0511300 8004001C
	buffer_load_dword v28, s[16:19], 0 offen offset:1024 lds   // 000000001AA0: E0511400 8004001C
	s_add_u32 m0, m0, 0x500                                    // 000000001AA8: 807CFF7C 00000500
	v_add_u32_e32 v28, 0x1200, v28                             // 000000001AB0: 683838FF 00001200
	buffer_load_dword v28, s[16:19], 0 offen lds               // 000000001AB8: E0511000 8004001C
	buffer_load_dword v28, s[16:19], 0 offen offset:256 lds    // 000000001AC0: E0511100 8004001C
	buffer_load_dword v28, s[16:19], 0 offen offset:512 lds    // 000000001AC8: E0511200 8004001C
	buffer_load_dword v28, s[16:19], 0 offen offset:768 lds    // 000000001AD0: E0511300 8004001C
	buffer_load_dword v28, s[16:19], 0 offen offset:1024 lds   // 000000001AD8: E0511400 8004001C
	s_add_u32 m0, m0, 0x500                                    // 000000001AE0: 807CFF7C 00000500
	v_add_u32_e32 v28, 0x1200, v28                             // 000000001AE8: 683838FF 00001200
	s_cmp_eq_i32 s7, 3                                         // 000000001AF0: BF008307
	s_cbranch_scc0 label_02E3                                  // 000000001AF4: BF840025
	ds_read_b128 a[0:3], v29                                   // 000000001AF8: DBFE0000 0000001D
	ds_read_b128 a[4:7], v29 offset:64                         // 000000001B00: DBFE0040 0400001D
	ds_read_b128 a[8:11], v29 offset:128                       // 000000001B08: DBFE0080 0800001D
	ds_read_b128 a[12:15], v29 offset:192                      // 000000001B10: DBFE00C0 0C00001D
	ds_read_b128 a[16:19], v29 offset:256                      // 000000001B18: DBFE0100 1000001D
	ds_read_b128 a[20:23], v29 offset:320                      // 000000001B20: DBFE0140 1400001D
	ds_read_b128 a[24:27], v29 offset:384                      // 000000001B28: DBFE0180 1800001D
	ds_read_b128 a[28:31], v29 offset:448                      // 000000001B30: DBFE01C0 1C00001D
	ds_read_b128 a[32:35], v29 offset:512                      // 000000001B38: DBFE0200 2000001D
	ds_read_b128 a[36:39], v29 offset:576                      // 000000001B40: DBFE0240 2400001D
	ds_read_b128 a[40:43], v29 offset:640                      // 000000001B48: DBFE0280 2800001D
	ds_read_b128 a[44:47], v29 offset:704                      // 000000001B50: DBFE02C0 2C00001D
	ds_read_b128 a[48:51], v29 offset:768                      // 000000001B58: DBFE0300 3000001D
	ds_read_b128 a[52:55], v29 offset:832                      // 000000001B60: DBFE0340 3400001D
	ds_read_b128 a[56:59], v29 offset:896                      // 000000001B68: DBFE0380 3800001D
	ds_read_b128 a[60:63], v29 offset:960                      // 000000001B70: DBFE03C0 3C00001D
	ds_read_b128 a[64:67], v29 offset:1024                     // 000000001B78: DBFE0400 4000001D
	ds_read_b128 a[68:71], v29 offset:1088                     // 000000001B80: DBFE0440 4400001D
	s_waitcnt lgkmcnt(0)                                       // 000000001B88: BF8CC07F

0000000000001b8c <label_02E3>:
	s_waitcnt vmcnt(20)                                        // 000000001B8C: BF8C4F74
	s_barrier                                                  // 000000001B90: BF8A0000
	s_mov_b32 m0, s34                                          // 000000001B94: BEFC0022
	v_add_u32_e32 v28, 0x1b000, v30                            // 000000001B98: 68383CFF 0001B000
	buffer_load_dword v28, s[16:19], 0 offen lds               // 000000001BA0: E0511000 8004001C
	buffer_load_dword v28, s[16:19], 0 offen offset:256 lds    // 000000001BA8: E0511100 8004001C
	buffer_load_dword v28, s[16:19], 0 offen offset:512 lds    // 000000001BB0: E0511200 8004001C
	buffer_load_dword v28, s[16:19], 0 offen offset:768 lds    // 000000001BB8: E0511300 8004001C
	buffer_load_dword v28, s[16:19], 0 offen offset:1024 lds   // 000000001BC0: E0511400 8004001C
	s_add_u32 m0, m0, 0x500                                    // 000000001BC8: 807CFF7C 00000500
	v_add_u32_e32 v28, 0x1200, v28                             // 000000001BD0: 683838FF 00001200
	buffer_load_dword v28, s[16:19], 0 offen lds               // 000000001BD8: E0511000 8004001C
	buffer_load_dword v28, s[16:19], 0 offen offset:256 lds    // 000000001BE0: E0511100 8004001C
	buffer_load_dword v28, s[16:19], 0 offen offset:512 lds    // 000000001BE8: E0511200 8004001C
	buffer_load_dword v28, s[16:19], 0 offen offset:768 lds    // 000000001BF0: E0511300 8004001C
	buffer_load_dword v28, s[16:19], 0 offen offset:1024 lds   // 000000001BF8: E0511400 8004001C
	s_add_u32 m0, m0, 0x500                                    // 000000001C00: 807CFF7C 00000500
	v_add_u32_e32 v28, 0x1200, v28                             // 000000001C08: 683838FF 00001200
	buffer_load_dword v28, s[16:19], 0 offen lds               // 000000001C10: E0511000 8004001C
	buffer_load_dword v28, s[16:19], 0 offen offset:256 lds    // 000000001C18: E0511100 8004001C
	buffer_load_dword v28, s[16:19], 0 offen offset:512 lds    // 000000001C20: E0511200 8004001C
	buffer_load_dword v28, s[16:19], 0 offen offset:768 lds    // 000000001C28: E0511300 8004001C
	buffer_load_dword v28, s[16:19], 0 offen offset:1024 lds   // 000000001C30: E0511400 8004001C
	s_add_u32 m0, m0, 0x500                                    // 000000001C38: 807CFF7C 00000500
	v_add_u32_e32 v28, 0x1200, v28                             // 000000001C40: 683838FF 00001200
	buffer_load_dword v28, s[16:19], 0 offen lds               // 000000001C48: E0511000 8004001C
	buffer_load_dword v28, s[16:19], 0 offen offset:256 lds    // 000000001C50: E0511100 8004001C
	buffer_load_dword v28, s[16:19], 0 offen offset:512 lds    // 000000001C58: E0511200 8004001C
	buffer_load_dword v28, s[16:19], 0 offen offset:768 lds    // 000000001C60: E0511300 8004001C
	buffer_load_dword v28, s[16:19], 0 offen offset:1024 lds   // 000000001C68: E0511400 8004001C
	s_add_u32 m0, m0, 0x500                                    // 000000001C70: 807CFF7C 00000500
	v_add_u32_e32 v28, 0x1200, v28                             // 000000001C78: 683838FF 00001200
	s_cmp_eq_i32 s7, 0                                         // 000000001C80: BF008007
	s_cbranch_scc0 label_0347                                  // 000000001C84: BF840025
	ds_read_b128 a[72:75], v29 offset:20608                    // 000000001C88: DBFE5080 4800001D
	ds_read_b128 a[76:79], v29 offset:20672                    // 000000001C90: DBFE50C0 4C00001D
	ds_read_b128 a[80:83], v29 offset:20736                    // 000000001C98: DBFE5100 5000001D
	ds_read_b128 a[84:87], v29 offset:20800                    // 000000001CA0: DBFE5140 5400001D
	ds_read_b128 a[88:91], v29 offset:20864                    // 000000001CA8: DBFE5180 5800001D
	ds_read_b128 a[92:95], v29 offset:20928                    // 000000001CB0: DBFE51C0 5C00001D
	ds_read_b128 a[96:99], v29 offset:20992                    // 000000001CB8: DBFE5200 6000001D
	ds_read_b128 a[100:103], v29 offset:21056                  // 000000001CC0: DBFE5240 6400001D
	ds_read_b128 a[104:107], v29 offset:21120                  // 000000001CC8: DBFE5280 6800001D
	ds_read_b128 a[108:111], v29 offset:21184                  // 000000001CD0: DBFE52C0 6C00001D
	ds_read_b128 a[112:115], v29 offset:21248                  // 000000001CD8: DBFE5300 7000001D
	ds_read_b128 a[116:119], v29 offset:21312                  // 000000001CE0: DBFE5340 7400001D
	ds_read_b128 a[120:123], v29 offset:21376                  // 000000001CE8: DBFE5380 7800001D
	ds_read_b128 a[124:127], v29 offset:21440                  // 000000001CF0: DBFE53C0 7C00001D
	ds_read_b128 a[128:131], v29 offset:21504                  // 000000001CF8: DBFE5400 8000001D
	ds_read_b128 a[132:135], v29 offset:21568                  // 000000001D00: DBFE5440 8400001D
	ds_read_b128 a[136:139], v29 offset:21632                  // 000000001D08: DBFE5480 8800001D
	ds_read_b128 a[140:143], v29 offset:21696                  // 000000001D10: DBFE54C0 8C00001D
	s_waitcnt lgkmcnt(0)                                       // 000000001D18: BF8CC07F

0000000000001d1c <label_0347>:
	s_waitcnt vmcnt(20)                                        // 000000001D1C: BF8C4F74
	s_barrier                                                  // 000000001D20: BF8A0000
	s_mov_b32 m0, s35                                          // 000000001D24: BEFC0023
	v_add_u32_e32 v28, 0x1f800, v30                            // 000000001D28: 68383CFF 0001F800
	buffer_load_dword v28, s[16:19], 0 offen lds               // 000000001D30: E0511000 8004001C
	buffer_load_dword v28, s[16:19], 0 offen offset:256 lds    // 000000001D38: E0511100 8004001C
	buffer_load_dword v28, s[16:19], 0 offen offset:512 lds    // 000000001D40: E0511200 8004001C
	buffer_load_dword v28, s[16:19], 0 offen offset:768 lds    // 000000001D48: E0511300 8004001C
	buffer_load_dword v28, s[16:19], 0 offen offset:1024 lds   // 000000001D50: E0511400 8004001C
	s_add_u32 m0, m0, 0x500                                    // 000000001D58: 807CFF7C 00000500
	v_add_u32_e32 v28, 0x1200, v28                             // 000000001D60: 683838FF 00001200
	buffer_load_dword v28, s[16:19], 0 offen lds               // 000000001D68: E0511000 8004001C
	buffer_load_dword v28, s[16:19], 0 offen offset:256 lds    // 000000001D70: E0511100 8004001C
	buffer_load_dword v28, s[16:19], 0 offen offset:512 lds    // 000000001D78: E0511200 8004001C
	buffer_load_dword v28, s[16:19], 0 offen offset:768 lds    // 000000001D80: E0511300 8004001C
	buffer_load_dword v28, s[16:19], 0 offen offset:1024 lds   // 000000001D88: E0511400 8004001C
	s_add_u32 m0, m0, 0x500                                    // 000000001D90: 807CFF7C 00000500
	v_add_u32_e32 v28, 0x1200, v28                             // 000000001D98: 683838FF 00001200
	buffer_load_dword v28, s[16:19], 0 offen lds               // 000000001DA0: E0511000 8004001C
	buffer_load_dword v28, s[16:19], 0 offen offset:256 lds    // 000000001DA8: E0511100 8004001C
	buffer_load_dword v28, s[16:19], 0 offen offset:512 lds    // 000000001DB0: E0511200 8004001C
	buffer_load_dword v28, s[16:19], 0 offen offset:768 lds    // 000000001DB8: E0511300 8004001C
	buffer_load_dword v28, s[16:19], 0 offen offset:1024 lds   // 000000001DC0: E0511400 8004001C
	s_add_u32 m0, m0, 0x500                                    // 000000001DC8: 807CFF7C 00000500
	v_add_u32_e32 v28, 0x1200, v28                             // 000000001DD0: 683838FF 00001200
	buffer_load_dword v28, s[16:19], 0 offen lds               // 000000001DD8: E0511000 8004001C
	buffer_load_dword v28, s[16:19], 0 offen offset:256 lds    // 000000001DE0: E0511100 8004001C
	buffer_load_dword v28, s[16:19], 0 offen offset:512 lds    // 000000001DE8: E0511200 8004001C
	buffer_load_dword v28, s[16:19], 0 offen offset:768 lds    // 000000001DF0: E0511300 8004001C
	buffer_load_dword v28, s[16:19], 0 offen offset:1024 lds   // 000000001DF8: E0511400 8004001C
	s_add_u32 m0, m0, 0x500                                    // 000000001E00: 807CFF7C 00000500
	v_add_u32_e32 v28, 0x1200, v28                             // 000000001E08: 683838FF 00001200
	s_cmp_eq_i32 s7, 1                                         // 000000001E10: BF008107
	s_cbranch_scc0 label_03AB                                  // 000000001E14: BF840025
	ds_read_b128 a[72:75], v29 offset:41216                    // 000000001E18: DBFEA100 4800001D
	ds_read_b128 a[76:79], v29 offset:41280                    // 000000001E20: DBFEA140 4C00001D
	ds_read_b128 a[80:83], v29 offset:41344                    // 000000001E28: DBFEA180 5000001D
	ds_read_b128 a[84:87], v29 offset:41408                    // 000000001E30: DBFEA1C0 5400001D
	ds_read_b128 a[88:91], v29 offset:41472                    // 000000001E38: DBFEA200 5800001D
	ds_read_b128 a[92:95], v29 offset:41536                    // 000000001E40: DBFEA240 5C00001D
	ds_read_b128 a[96:99], v29 offset:41600                    // 000000001E48: DBFEA280 6000001D
	ds_read_b128 a[100:103], v29 offset:41664                  // 000000001E50: DBFEA2C0 6400001D
	ds_read_b128 a[104:107], v29 offset:41728                  // 000000001E58: DBFEA300 6800001D
	ds_read_b128 a[108:111], v29 offset:41792                  // 000000001E60: DBFEA340 6C00001D
	ds_read_b128 a[112:115], v29 offset:41856                  // 000000001E68: DBFEA380 7000001D
	ds_read_b128 a[116:119], v29 offset:41920                  // 000000001E70: DBFEA3C0 7400001D
	ds_read_b128 a[120:123], v29 offset:41984                  // 000000001E78: DBFEA400 7800001D
	ds_read_b128 a[124:127], v29 offset:42048                  // 000000001E80: DBFEA440 7C00001D
	ds_read_b128 a[128:131], v29 offset:42112                  // 000000001E88: DBFEA480 8000001D
	ds_read_b128 a[132:135], v29 offset:42176                  // 000000001E90: DBFEA4C0 8400001D
	ds_read_b128 a[136:139], v29 offset:42240                  // 000000001E98: DBFEA500 8800001D
	ds_read_b128 a[140:143], v29 offset:42304                  // 000000001EA0: DBFEA540 8C00001D
	s_waitcnt lgkmcnt(0)                                       // 000000001EA8: BF8CC07F

0000000000001eac <label_03AB>:
	s_waitcnt vmcnt(20)                                        // 000000001EAC: BF8C4F74
	s_barrier                                                  // 000000001EB0: BF8A0000
	s_cmp_eq_i32 s7, 2                                         // 000000001EB4: BF008207
	s_cbranch_scc0 label_03D4                                  // 000000001EB8: BF840025
	ds_read_b128 a[72:75], v29                                 // 000000001EBC: DBFE0000 4800001D
	ds_read_b128 a[76:79], v29 offset:64                       // 000000001EC4: DBFE0040 4C00001D
	ds_read_b128 a[80:83], v29 offset:128                      // 000000001ECC: DBFE0080 5000001D
	ds_read_b128 a[84:87], v29 offset:192                      // 000000001ED4: DBFE00C0 5400001D
	ds_read_b128 a[88:91], v29 offset:256                      // 000000001EDC: DBFE0100 5800001D
	ds_read_b128 a[92:95], v29 offset:320                      // 000000001EE4: DBFE0140 5C00001D
	ds_read_b128 a[96:99], v29 offset:384                      // 000000001EEC: DBFE0180 6000001D
	ds_read_b128 a[100:103], v29 offset:448                    // 000000001EF4: DBFE01C0 6400001D
	ds_read_b128 a[104:107], v29 offset:512                    // 000000001EFC: DBFE0200 6800001D
	ds_read_b128 a[108:111], v29 offset:576                    // 000000001F04: DBFE0240 6C00001D
	ds_read_b128 a[112:115], v29 offset:640                    // 000000001F0C: DBFE0280 7000001D
	ds_read_b128 a[116:119], v29 offset:704                    // 000000001F14: DBFE02C0 7400001D
	ds_read_b128 a[120:123], v29 offset:768                    // 000000001F1C: DBFE0300 7800001D
	ds_read_b128 a[124:127], v29 offset:832                    // 000000001F24: DBFE0340 7C00001D
	ds_read_b128 a[128:131], v29 offset:896                    // 000000001F2C: DBFE0380 8000001D
	ds_read_b128 a[132:135], v29 offset:960                    // 000000001F34: DBFE03C0 8400001D
	ds_read_b128 a[136:139], v29 offset:1024                   // 000000001F3C: DBFE0400 8800001D
	ds_read_b128 a[140:143], v29 offset:1088                   // 000000001F44: DBFE0440 8C00001D
	s_waitcnt lgkmcnt(0)                                       // 000000001F4C: BF8CC07F

0000000000001f50 <label_03D4>:
	s_waitcnt vmcnt(0)                                         // 000000001F50: BF8C0F70
	s_barrier                                                  // 000000001F54: BF8A0000
	s_cmp_eq_i32 s7, 3                                         // 000000001F58: BF008307
	s_cbranch_scc0 label_03FD                                  // 000000001F5C: BF840025
	ds_read_b128 a[72:75], v29 offset:20608                    // 000000001F60: DBFE5080 4800001D
	ds_read_b128 a[76:79], v29 offset:20672                    // 000000001F68: DBFE50C0 4C00001D
	ds_read_b128 a[80:83], v29 offset:20736                    // 000000001F70: DBFE5100 5000001D
	ds_read_b128 a[84:87], v29 offset:20800                    // 000000001F78: DBFE5140 5400001D
	ds_read_b128 a[88:91], v29 offset:20864                    // 000000001F80: DBFE5180 5800001D
	ds_read_b128 a[92:95], v29 offset:20928                    // 000000001F88: DBFE51C0 5C00001D
	ds_read_b128 a[96:99], v29 offset:20992                    // 000000001F90: DBFE5200 6000001D
	ds_read_b128 a[100:103], v29 offset:21056                  // 000000001F98: DBFE5240 6400001D
	ds_read_b128 a[104:107], v29 offset:21120                  // 000000001FA0: DBFE5280 6800001D
	ds_read_b128 a[108:111], v29 offset:21184                  // 000000001FA8: DBFE52C0 6C00001D
	ds_read_b128 a[112:115], v29 offset:21248                  // 000000001FB0: DBFE5300 7000001D
	ds_read_b128 a[116:119], v29 offset:21312                  // 000000001FB8: DBFE5340 7400001D
	ds_read_b128 a[120:123], v29 offset:21376                  // 000000001FC0: DBFE5380 7800001D
	ds_read_b128 a[124:127], v29 offset:21440                  // 000000001FC8: DBFE53C0 7C00001D
	ds_read_b128 a[128:131], v29 offset:21504                  // 000000001FD0: DBFE5400 8000001D
	ds_read_b128 a[132:135], v29 offset:21568                  // 000000001FD8: DBFE5440 8400001D
	ds_read_b128 a[136:139], v29 offset:21632                  // 000000001FE0: DBFE5480 8800001D
	ds_read_b128 a[140:143], v29 offset:21696                  // 000000001FE8: DBFE54C0 8C00001D
	s_waitcnt lgkmcnt(0)                                       // 000000001FF0: BF8CC07F

0000000000001ff4 <label_03FD>:
	s_waitcnt vmcnt(0)                                         // 000000001FF4: BF8C0F70
	s_barrier                                                  // 000000001FF8: BF8A0000
	s_mov_b32 s52, 0x7060302                                   // 000000001FFC: BEB400FF 07060302
	s_mov_b32 s53, 0x5040100                                   // 000000002004: BEB500FF 05040100
	s_mov_b32 s6, 0x3fb8aa3b                                   // 00000000200C: BE8600FF 3FB8AA3B
	v_mov_b32_e32 v21, s6                                      // 000000002014: 7E2A0206
	v_mov_b32_e32 v20, s64                                     // 000000002018: 7E280240
	v_mul_f32_e32 v20, s6, v20                                 // 00000000201C: 0A282806
	v_rcp_f32_e32 v21, v21                                     // 000000002020: 7E2A4515
	v_mov_b32_e32 v12, 0xff7fffff                              // 000000002024: 7E1802FF FF7FFFFF
	v_mov_b32_e32 v13, 0xff7fffff                              // 00000000202C: 7E1A02FF FF7FFFFF
	v_mov_b32_e32 v16, 0                                       // 000000002034: 7E200280
	v_mov_b32_e32 v17, 0                                       // 000000002038: 7E220280
	v_mov_b32_e32 v14, 0                                       // 00000000203C: 7E1C0280
	v_mov_b32_e32 v15, 0                                       // 000000002040: 7E1E0280
	v_mov_b32_e32 v9, s68                                      // 000000002044: 7E120244
	v_readfirstlane_b32 s5, v20                                // 000000002048: 7E0A0514
	v_readfirstlane_b32 s63, v21                               // 00000000204C: 7E7E0515
	v_and_b32_e32 v2, 15, v0                                   // 000000002050: 2604008F
	v_lshlrev_b32_e32 v2, 2, v2                                // 000000002054: 24040482
	s_mul_i32 s56, 0x100, s7                                   // 000000002058: 923807FF 00000100
	v_add_u32_e32 v2, s56, v2                                  // 000000002060: 68040438
	v_lshlrev_b32_e32 v3, 2, v0                                // 000000002064: 24060082
	s_mul_i32 s56, 0x100, s7                                   // 000000002068: 923807FF 00000100
	v_add_u32_e32 v3, s56, v3                                  // 000000002070: 68060638
	v_and_b32_e32 v20, 31, v0                                  // 000000002074: 2628009F
	v_lshlrev_b32_e32 v1, 2, v20                               // 000000002078: 24022882
	s_mul_i32 s34, s7, 0x1220                                  // 00000000207C: 9222FF07 00001220
	s_add_u32 s34, 0, s34                                      // 000000002084: 80222280
	s_add_u32 s35, 0x900, s34                                  // 000000002088: 802322FF 00000900
	s_add_u32 s36, 0x4880, s34                                 // 000000002090: 802422FF 00004880
	s_add_u32 s37, 0x4880, s35                                 // 000000002098: 802523FF 00004880
	s_waitcnt vmcnt(0)                                         // 0000000020A0: BF8C0F70
	v_mul_u32_u24_dpp v18, v10, v9 row_newbcast:0 row_mask:0xf bank_mask:0xf// 0000000020A4: 102412FA FF01500A
	v_mul_u32_u24_dpp v19, v10, v9 row_newbcast:8 row_mask:0xf bank_mask:0xf// 0000000020AC: 102612FA FF01580A
	v_add_u32_e32 v18, v18, v1                                 // 0000000020B4: 68240312
	v_add_u32_e32 v19, v19, v1                                 // 0000000020B8: 68260313
	s_mov_b32 m0, s34                                          // 0000000020BC: BEFC0022
	buffer_load_dword v18, s[20:23], 0 offen lds               // 0000000020C0: E0511000 80050012
	s_add_u32 m0, 0, s35                                       // 0000000020C8: 807C2380
	buffer_load_dword v19, s[20:23], 0 offen lds               // 0000000020CC: E0511000 80050013
	s_add_u32 m0, 0x80, s34                                    // 0000000020D4: 807C22FF 00000080
	buffer_load_dword v18, s[20:23], 0 offen offset:128 lds    // 0000000020DC: E0511080 80050012
	s_add_u32 m0, 0x80, s35                                    // 0000000020E4: 807C23FF 00000080
	buffer_load_dword v19, s[20:23], 0 offen offset:128 lds    // 0000000020EC: E0511080 80050013
	s_add_u32 m0, 0x100, s34                                   // 0000000020F4: 807C22FF 00000100
	buffer_load_dword v18, s[20:23], 0 offen offset:256 lds    // 0000000020FC: E0511100 80050012
	s_add_u32 m0, 0x100, s35                                   // 000000002104: 807C23FF 00000100
	buffer_load_dword v19, s[20:23], 0 offen offset:256 lds    // 00000000210C: E0511100 80050013
	s_add_u32 m0, 0x180, s34                                   // 000000002114: 807C22FF 00000180
	buffer_load_dword v18, s[20:23], 0 offen offset:384 lds    // 00000000211C: E0511180 80050012
	s_add_u32 m0, 0x180, s35                                   // 000000002124: 807C23FF 00000180
	buffer_load_dword v19, s[20:23], 0 offen offset:384 lds    // 00000000212C: E0511180 80050013
	s_add_u32 m0, 0x200, s34                                   // 000000002134: 807C22FF 00000200
	buffer_load_dword v18, s[20:23], 0 offen offset:512 lds    // 00000000213C: E0511200 80050012
	s_add_u32 m0, 0x200, s35                                   // 000000002144: 807C23FF 00000200
	buffer_load_dword v19, s[20:23], 0 offen offset:512 lds    // 00000000214C: E0511200 80050013
	s_add_u32 m0, 0x280, s34                                   // 000000002154: 807C22FF 00000280
	buffer_load_dword v18, s[20:23], 0 offen offset:640 lds    // 00000000215C: E0511280 80050012
	s_add_u32 m0, 0x280, s35                                   // 000000002164: 807C23FF 00000280
	buffer_load_dword v19, s[20:23], 0 offen offset:640 lds    // 00000000216C: E0511280 80050013
	s_add_u32 m0, 0x300, s34                                   // 000000002174: 807C22FF 00000300
	buffer_load_dword v18, s[20:23], 0 offen offset:768 lds    // 00000000217C: E0511300 80050012
	s_add_u32 m0, 0x300, s35                                   // 000000002184: 807C23FF 00000300
	buffer_load_dword v19, s[20:23], 0 offen offset:768 lds    // 00000000218C: E0511300 80050013
	s_add_u32 m0, 0x380, s34                                   // 000000002194: 807C22FF 00000380
	buffer_load_dword v18, s[20:23], 0 offen offset:896 lds    // 00000000219C: E0511380 80050012
	s_add_u32 m0, 0x380, s35                                   // 0000000021A4: 807C23FF 00000380
	buffer_load_dword v19, s[20:23], 0 offen offset:896 lds    // 0000000021AC: E0511380 80050013
	s_add_u32 m0, 0x400, s34                                   // 0000000021B4: 807C22FF 00000400
	buffer_load_dword v18, s[20:23], 0 offen offset:1024 lds   // 0000000021BC: E0511400 80050012
	s_add_u32 m0, 0x400, s35                                   // 0000000021C4: 807C23FF 00000400
	buffer_load_dword v19, s[20:23], 0 offen offset:1024 lds   // 0000000021CC: E0511400 80050013
	s_add_u32 m0, 0x480, s34                                   // 0000000021D4: 807C22FF 00000480
	buffer_load_dword v10, v8, s[24:27], 0 offen               // 0000000021DC: E0501000 80060A08
	v_add_u32_e32 v8, s73, v8                                  // 0000000021E4: 68101049
	v_mov_b32_e32 v40, 0                                       // 0000000021E8: 7E500280
	v_mov_b32_e32 v41, 0                                       // 0000000021EC: 7E520280
	v_mov_b32_e32 v42, 0                                       // 0000000021F0: 7E540280
	v_mov_b32_e32 v43, 0                                       // 0000000021F4: 7E560280
	v_mov_b32_e32 v44, 0                                       // 0000000021F8: 7E580280
	v_mov_b32_e32 v45, 0                                       // 0000000021FC: 7E5A0280
	v_mov_b32_e32 v46, 0                                       // 000000002200: 7E5C0280
	v_mov_b32_e32 v47, 0                                       // 000000002204: 7E5E0280
	v_mov_b32_e32 v48, 0                                       // 000000002208: 7E600280
	v_mov_b32_e32 v49, 0                                       // 00000000220C: 7E620280
	v_mov_b32_e32 v50, 0                                       // 000000002210: 7E640280
	v_mov_b32_e32 v51, 0                                       // 000000002214: 7E660280
	v_mov_b32_e32 v52, 0                                       // 000000002218: 7E680280
	v_mov_b32_e32 v53, 0                                       // 00000000221C: 7E6A0280
	v_mov_b32_e32 v54, 0                                       // 000000002220: 7E6C0280
	v_mov_b32_e32 v55, 0                                       // 000000002224: 7E6E0280
	v_mov_b32_e32 v56, 0                                       // 000000002228: 7E700280
	v_mov_b32_e32 v57, 0                                       // 00000000222C: 7E720280
	v_mov_b32_e32 v58, 0                                       // 000000002230: 7E740280
	v_mov_b32_e32 v59, 0                                       // 000000002234: 7E760280
	v_mov_b32_e32 v60, 0                                       // 000000002238: 7E780280
	v_mov_b32_e32 v61, 0                                       // 00000000223C: 7E7A0280
	v_mov_b32_e32 v62, 0                                       // 000000002240: 7E7C0280
	v_mov_b32_e32 v63, 0                                       // 000000002244: 7E7E0280
	v_mov_b32_e32 v64, 0                                       // 000000002248: 7E800280
	v_mov_b32_e32 v65, 0                                       // 00000000224C: 7E820280
	v_mov_b32_e32 v66, 0                                       // 000000002250: 7E840280
	v_mov_b32_e32 v67, 0                                       // 000000002254: 7E860280
	v_mov_b32_e32 v68, 0                                       // 000000002258: 7E880280
	v_mov_b32_e32 v69, 0                                       // 00000000225C: 7E8A0280
	v_mov_b32_e32 v70, 0                                       // 000000002260: 7E8C0280
	v_mov_b32_e32 v71, 0                                       // 000000002264: 7E8E0280
	v_mov_b32_e32 v72, 0                                       // 000000002268: 7E900280
	v_mov_b32_e32 v73, 0                                       // 00000000226C: 7E920280
	v_mov_b32_e32 v74, 0                                       // 000000002270: 7E940280
	v_mov_b32_e32 v75, 0                                       // 000000002274: 7E960280
	v_mov_b32_e32 v76, 0                                       // 000000002278: 7E980280
	v_mov_b32_e32 v77, 0                                       // 00000000227C: 7E9A0280
	v_mov_b32_e32 v78, 0                                       // 000000002280: 7E9C0280
	v_mov_b32_e32 v79, 0                                       // 000000002284: 7E9E0280
	v_mov_b32_e32 v80, 0                                       // 000000002288: 7EA00280
	v_mov_b32_e32 v81, 0                                       // 00000000228C: 7EA20280
	v_mov_b32_e32 v82, 0                                       // 000000002290: 7EA40280
	v_mov_b32_e32 v83, 0                                       // 000000002294: 7EA60280
	v_mov_b32_e32 v84, 0                                       // 000000002298: 7EA80280
	v_mov_b32_e32 v85, 0                                       // 00000000229C: 7EAA0280
	v_mov_b32_e32 v86, 0                                       // 0000000022A0: 7EAC0280
	v_mov_b32_e32 v87, 0                                       // 0000000022A4: 7EAE0280
	v_mov_b32_e32 v88, 0                                       // 0000000022A8: 7EB00280
	v_mov_b32_e32 v89, 0                                       // 0000000022AC: 7EB20280
	v_mov_b32_e32 v90, 0                                       // 0000000022B0: 7EB40280
	v_mov_b32_e32 v91, 0                                       // 0000000022B4: 7EB60280
	v_mov_b32_e32 v92, 0                                       // 0000000022B8: 7EB80280
	v_mov_b32_e32 v93, 0                                       // 0000000022BC: 7EBA0280
	v_mov_b32_e32 v94, 0                                       // 0000000022C0: 7EBC0280
	v_mov_b32_e32 v95, 0                                       // 0000000022C4: 7EBE0280
	v_mov_b32_e32 v96, 0                                       // 0000000022C8: 7EC00280
	v_mov_b32_e32 v97, 0                                       // 0000000022CC: 7EC20280
	v_mov_b32_e32 v98, 0                                       // 0000000022D0: 7EC40280
	v_mov_b32_e32 v99, 0                                       // 0000000022D4: 7EC60280
	v_mov_b32_e32 v100, 0                                      // 0000000022D8: 7EC80280
	v_mov_b32_e32 v101, 0                                      // 0000000022DC: 7ECA0280
	v_mov_b32_e32 v102, 0                                      // 0000000022E0: 7ECC0280
	v_mov_b32_e32 v103, 0                                      // 0000000022E4: 7ECE0280
	v_mov_b32_e32 v104, 0                                      // 0000000022E8: 7ED00280
	v_mov_b32_e32 v105, 0                                      // 0000000022EC: 7ED20280
	v_mov_b32_e32 v106, 0                                      // 0000000022F0: 7ED40280
	v_mov_b32_e32 v107, 0                                      // 0000000022F4: 7ED60280
	v_mov_b32_e32 v108, 0                                      // 0000000022F8: 7ED80280
	v_mov_b32_e32 v109, 0                                      // 0000000022FC: 7EDA0280
	v_mov_b32_e32 v110, 0                                      // 000000002300: 7EDC0280
	v_mov_b32_e32 v111, 0                                      // 000000002304: 7EDE0280
	v_mov_b32_e32 v112, 0                                      // 000000002308: 7EE00280
	v_mov_b32_e32 v113, 0                                      // 00000000230C: 7EE20280
	v_mov_b32_e32 v114, 0                                      // 000000002310: 7EE40280
	v_mov_b32_e32 v115, 0                                      // 000000002314: 7EE60280
	v_mov_b32_e32 v116, 0                                      // 000000002318: 7EE80280
	v_mov_b32_e32 v117, 0                                      // 00000000231C: 7EEA0280
	v_mov_b32_e32 v118, 0                                      // 000000002320: 7EEC0280
	v_mov_b32_e32 v119, 0                                      // 000000002324: 7EEE0280
	v_mov_b32_e32 v120, 0                                      // 000000002328: 7EF00280
	v_mov_b32_e32 v121, 0                                      // 00000000232C: 7EF20280
	v_mov_b32_e32 v122, 0                                      // 000000002330: 7EF40280
	v_mov_b32_e32 v123, 0                                      // 000000002334: 7EF60280
	v_mov_b32_e32 v124, 0                                      // 000000002338: 7EF80280
	v_mov_b32_e32 v125, 0                                      // 00000000233C: 7EFA0280
	v_mov_b32_e32 v126, 0                                      // 000000002340: 7EFC0280
	v_mov_b32_e32 v127, 0                                      // 000000002344: 7EFE0280
	v_mov_b32_e32 v128, 0                                      // 000000002348: 7F000280
	v_mov_b32_e32 v129, 0                                      // 00000000234C: 7F020280
	v_mov_b32_e32 v130, 0                                      // 000000002350: 7F040280
	v_mov_b32_e32 v131, 0                                      // 000000002354: 7F060280
	v_mov_b32_e32 v132, 0                                      // 000000002358: 7F080280
	v_mov_b32_e32 v133, 0                                      // 00000000235C: 7F0A0280
	v_mov_b32_e32 v134, 0                                      // 000000002360: 7F0C0280
	v_mov_b32_e32 v135, 0                                      // 000000002364: 7F0E0280
	v_mov_b32_e32 v136, 0                                      // 000000002368: 7F100280
	v_mov_b32_e32 v137, 0                                      // 00000000236C: 7F120280
	v_mov_b32_e32 v138, 0                                      // 000000002370: 7F140280
	v_mov_b32_e32 v139, 0                                      // 000000002374: 7F160280
	v_mov_b32_e32 v140, 0                                      // 000000002378: 7F180280
	v_mov_b32_e32 v141, 0                                      // 00000000237C: 7F1A0280
	v_mov_b32_e32 v142, 0                                      // 000000002380: 7F1C0280
	v_mov_b32_e32 v143, 0                                      // 000000002384: 7F1E0280
	v_mov_b32_e32 v144, 0                                      // 000000002388: 7F200280
	v_mov_b32_e32 v145, 0                                      // 00000000238C: 7F220280
	v_mov_b32_e32 v146, 0                                      // 000000002390: 7F240280
	v_mov_b32_e32 v147, 0                                      // 000000002394: 7F260280
	v_mov_b32_e32 v148, 0                                      // 000000002398: 7F280280
	v_mov_b32_e32 v149, 0                                      // 00000000239C: 7F2A0280
	v_mov_b32_e32 v150, 0                                      // 0000000023A0: 7F2C0280
	v_mov_b32_e32 v151, 0                                      // 0000000023A4: 7F2E0280
	v_mov_b32_e32 v152, 0                                      // 0000000023A8: 7F300280
	v_mov_b32_e32 v153, 0                                      // 0000000023AC: 7F320280
	v_mov_b32_e32 v154, 0                                      // 0000000023B0: 7F340280
	v_mov_b32_e32 v155, 0                                      // 0000000023B4: 7F360280
	v_mov_b32_e32 v156, 0                                      // 0000000023B8: 7F380280
	v_mov_b32_e32 v157, 0                                      // 0000000023BC: 7F3A0280
	v_mov_b32_e32 v158, 0                                      // 0000000023C0: 7F3C0280
	v_mov_b32_e32 v159, 0                                      // 0000000023C4: 7F3E0280
	v_mov_b32_e32 v160, 0                                      // 0000000023C8: 7F400280
	v_mov_b32_e32 v161, 0                                      // 0000000023CC: 7F420280
	v_mov_b32_e32 v162, 0                                      // 0000000023D0: 7F440280
	v_mov_b32_e32 v163, 0                                      // 0000000023D4: 7F460280
	v_mov_b32_e32 v164, 0                                      // 0000000023D8: 7F480280
	v_mov_b32_e32 v165, 0                                      // 0000000023DC: 7F4A0280
	v_mov_b32_e32 v166, 0                                      // 0000000023E0: 7F4C0280
	v_mov_b32_e32 v167, 0                                      // 0000000023E4: 7F4E0280
	v_mov_b32_e32 v168, 0                                      // 0000000023E8: 7F500280
	v_mov_b32_e32 v169, 0                                      // 0000000023EC: 7F520280
	v_mov_b32_e32 v170, 0                                      // 0000000023F0: 7F540280
	v_mov_b32_e32 v171, 0                                      // 0000000023F4: 7F560280
	v_mov_b32_e32 v172, 0                                      // 0000000023F8: 7F580280
	v_mov_b32_e32 v173, 0                                      // 0000000023FC: 7F5A0280
	v_mov_b32_e32 v174, 0                                      // 000000002400: 7F5C0280
	v_mov_b32_e32 v175, 0                                      // 000000002404: 7F5E0280
	v_mov_b32_e32 v176, 0                                      // 000000002408: 7F600280
	v_mov_b32_e32 v177, 0                                      // 00000000240C: 7F620280
	v_mov_b32_e32 v178, 0                                      // 000000002410: 7F640280
	v_mov_b32_e32 v179, 0                                      // 000000002414: 7F660280
	v_mov_b32_e32 v180, 0                                      // 000000002418: 7F680280
	v_mov_b32_e32 v181, 0                                      // 00000000241C: 7F6A0280
	v_mov_b32_e32 v182, 0                                      // 000000002420: 7F6C0280
	v_mov_b32_e32 v183, 0                                      // 000000002424: 7F6E0280
	v_mov_b32_e32 v184, 0                                      // 000000002428: 7F700280
	v_mov_b32_e32 v185, 0                                      // 00000000242C: 7F720280
	v_mov_b32_e32 v186, 0                                      // 000000002430: 7F740280
	v_mov_b32_e32 v187, 0                                      // 000000002434: 7F760280
	v_mov_b32_e32 v188, 0                                      // 000000002438: 7F780280
	v_mov_b32_e32 v189, 0                                      // 00000000243C: 7F7A0280
	v_mov_b32_e32 v190, 0                                      // 000000002440: 7F7C0280
	v_mov_b32_e32 v191, 0                                      // 000000002444: 7F7E0280
	v_mov_b32_e32 v192, 0                                      // 000000002448: 7F800280
	v_mov_b32_e32 v193, 0                                      // 00000000244C: 7F820280
	v_mov_b32_e32 v194, 0                                      // 000000002450: 7F840280
	v_mov_b32_e32 v195, 0                                      // 000000002454: 7F860280
	v_mov_b32_e32 v196, 0                                      // 000000002458: 7F880280
	v_mov_b32_e32 v197, 0                                      // 00000000245C: 7F8A0280
	v_mov_b32_e32 v198, 0                                      // 000000002460: 7F8C0280
	v_mov_b32_e32 v199, 0                                      // 000000002464: 7F8E0280
	v_mov_b32_e32 v200, 0                                      // 000000002468: 7F900280
	v_mov_b32_e32 v201, 0                                      // 00000000246C: 7F920280
	v_mov_b32_e32 v202, 0                                      // 000000002470: 7F940280
	v_mov_b32_e32 v203, 0                                      // 000000002474: 7F960280
	v_mov_b32_e32 v204, 0                                      // 000000002478: 7F980280
	v_mov_b32_e32 v205, 0                                      // 00000000247C: 7F9A0280
	v_mov_b32_e32 v206, 0                                      // 000000002480: 7F9C0280
	v_mov_b32_e32 v207, 0                                      // 000000002484: 7F9E0280
	v_mov_b32_e32 v208, 0                                      // 000000002488: 7FA00280
	v_mov_b32_e32 v209, 0                                      // 00000000248C: 7FA20280
	v_mov_b32_e32 v210, 0                                      // 000000002490: 7FA40280
	v_mov_b32_e32 v211, 0                                      // 000000002494: 7FA60280
	v_mov_b32_e32 v212, 0                                      // 000000002498: 7FA80280
	v_mov_b32_e32 v213, 0                                      // 00000000249C: 7FAA0280
	v_mov_b32_e32 v214, 0                                      // 0000000024A0: 7FAC0280
	v_mov_b32_e32 v215, 0                                      // 0000000024A4: 7FAE0280
	v_mov_b32_e32 v216, 0                                      // 0000000024A8: 7FB00280
	v_mov_b32_e32 v217, 0                                      // 0000000024AC: 7FB20280
	v_mov_b32_e32 v218, 0                                      // 0000000024B0: 7FB40280
	v_mov_b32_e32 v219, 0                                      // 0000000024B4: 7FB60280
	v_mov_b32_e32 v220, 0                                      // 0000000024B8: 7FB80280
	v_mov_b32_e32 v221, 0                                      // 0000000024BC: 7FBA0280
	v_mov_b32_e32 v222, 0                                      // 0000000024C0: 7FBC0280
	v_mov_b32_e32 v223, 0                                      // 0000000024C4: 7FBE0280
	v_mov_b32_e32 v224, 0                                      // 0000000024C8: 7FC00280
	v_mov_b32_e32 v225, 0                                      // 0000000024CC: 7FC20280
	v_mov_b32_e32 v226, 0                                      // 0000000024D0: 7FC40280
	v_mov_b32_e32 v227, 0                                      // 0000000024D4: 7FC60280
	v_mov_b32_e32 v228, 0                                      // 0000000024D8: 7FC80280
	v_mov_b32_e32 v229, 0                                      // 0000000024DC: 7FCA0280
	v_mov_b32_e32 v230, 0                                      // 0000000024E0: 7FCC0280
	v_mov_b32_e32 v231, 0                                      // 0000000024E4: 7FCE0280
	v_mov_b32_e32 v232, 0                                      // 0000000024E8: 7FD00280
	v_mov_b32_e32 v233, 0                                      // 0000000024EC: 7FD20280
	v_mov_b32_e32 v234, 0                                      // 0000000024F0: 7FD40280
	v_mov_b32_e32 v235, 0                                      // 0000000024F4: 7FD60280
	v_mov_b32_e32 v236, 0                                      // 0000000024F8: 7FD80280
	v_mov_b32_e32 v237, 0                                      // 0000000024FC: 7FDA0280
	v_mov_b32_e32 v238, 0                                      // 000000002500: 7FDC0280
	v_mov_b32_e32 v239, 0                                      // 000000002504: 7FDE0280
	v_mov_b32_e32 v240, 0                                      // 000000002508: 7FE00280
	v_mov_b32_e32 v241, 0                                      // 00000000250C: 7FE20280
	v_mov_b32_e32 v242, 0                                      // 000000002510: 7FE40280
	v_mov_b32_e32 v243, 0                                      // 000000002514: 7FE60280
	v_mov_b32_e32 v244, 0                                      // 000000002518: 7FE80280
	v_mov_b32_e32 v245, 0                                      // 00000000251C: 7FEA0280
	v_mov_b32_e32 v246, 0                                      // 000000002520: 7FEC0280
	v_mov_b32_e32 v247, 0                                      // 000000002524: 7FEE0280
	v_mov_b32_e32 v248, 0                                      // 000000002528: 7FF00280
	v_mov_b32_e32 v249, 0                                      // 00000000252C: 7FF20280
	v_mov_b32_e32 v250, 0                                      // 000000002530: 7FF40280
	v_mov_b32_e32 v251, 0                                      // 000000002534: 7FF60280
	v_mov_b32_e32 v252, 0                                      // 000000002538: 7FF80280
	v_mov_b32_e32 v253, 0                                      // 00000000253C: 7FFA0280
	v_mov_b32_e32 v254, 0                                      // 000000002540: 7FFC0280
	v_mov_b32_e32 v255, 0                                      // 000000002544: 7FFE0280
	v_accvgpr_write_b32 a216, 0                                // 000000002548: D3D940D8 18000080
	v_accvgpr_write_b32 a217, 0                                // 000000002550: D3D940D9 18000080
	v_accvgpr_write_b32 a218, 0                                // 000000002558: D3D940DA 18000080
	v_accvgpr_write_b32 a219, 0                                // 000000002560: D3D940DB 18000080
	v_accvgpr_write_b32 a220, 0                                // 000000002568: D3D940DC 18000080
	v_accvgpr_write_b32 a221, 0                                // 000000002570: D3D940DD 18000080
	v_accvgpr_write_b32 a222, 0                                // 000000002578: D3D940DE 18000080
	v_accvgpr_write_b32 a223, 0                                // 000000002580: D3D940DF 18000080
	v_accvgpr_write_b32 a224, 0                                // 000000002588: D3D940E0 18000080
	v_accvgpr_write_b32 a225, 0                                // 000000002590: D3D940E1 18000080
	v_accvgpr_write_b32 a226, 0                                // 000000002598: D3D940E2 18000080
	v_accvgpr_write_b32 a227, 0                                // 0000000025A0: D3D940E3 18000080
	v_accvgpr_write_b32 a228, 0                                // 0000000025A8: D3D940E4 18000080
	v_accvgpr_write_b32 a229, 0                                // 0000000025B0: D3D940E5 18000080
	v_accvgpr_write_b32 a230, 0                                // 0000000025B8: D3D940E6 18000080
	v_accvgpr_write_b32 a231, 0                                // 0000000025C0: D3D940E7 18000080
	v_accvgpr_write_b32 a232, 0                                // 0000000025C8: D3D940E8 18000080
	v_accvgpr_write_b32 a233, 0                                // 0000000025D0: D3D940E9 18000080
	v_accvgpr_write_b32 a234, 0                                // 0000000025D8: D3D940EA 18000080
	v_accvgpr_write_b32 a235, 0                                // 0000000025E0: D3D940EB 18000080
	v_accvgpr_write_b32 a236, 0                                // 0000000025E8: D3D940EC 18000080
	v_accvgpr_write_b32 a237, 0                                // 0000000025F0: D3D940ED 18000080
	v_accvgpr_write_b32 a238, 0                                // 0000000025F8: D3D940EE 18000080
	v_accvgpr_write_b32 a239, 0                                // 000000002600: D3D940EF 18000080
	v_accvgpr_write_b32 a240, 0                                // 000000002608: D3D940F0 18000080
	v_accvgpr_write_b32 a241, 0                                // 000000002610: D3D940F1 18000080
	v_accvgpr_write_b32 a242, 0                                // 000000002618: D3D940F2 18000080
	v_accvgpr_write_b32 a243, 0                                // 000000002620: D3D940F3 18000080
	v_accvgpr_write_b32 a244, 0                                // 000000002628: D3D940F4 18000080
	v_accvgpr_write_b32 a245, 0                                // 000000002630: D3D940F5 18000080
	v_accvgpr_write_b32 a246, 0                                // 000000002638: D3D940F6 18000080
	v_accvgpr_write_b32 a247, 0                                // 000000002640: D3D940F7 18000080
	v_accvgpr_write_b32 a248, 0                                // 000000002648: D3D940F8 18000080
	v_accvgpr_write_b32 a249, 0                                // 000000002650: D3D940F9 18000080
	v_accvgpr_write_b32 a250, 0                                // 000000002658: D3D940FA 18000080
	v_accvgpr_write_b32 a251, 0                                // 000000002660: D3D940FB 18000080
	v_accvgpr_write_b32 a252, 0                                // 000000002668: D3D940FC 18000080
	v_accvgpr_write_b32 a253, 0                                // 000000002670: D3D940FD 18000080
	v_accvgpr_write_b32 a254, 0                                // 000000002678: D3D940FE 18000080
	v_accvgpr_write_b32 a255, 0                                // 000000002680: D3D940FF 18000080
	v_lshrrev_b32_e32 v20, 4, v0                               // 000000002688: 20280084
	v_mul_i32_i24_e32 v21, 4, v20                              // 00000000268C: 0C2A2884
	v_and_b32_e32 v20, 15, v0                                  // 000000002690: 2628008F
	v_and_b32_e32 v22, 3, v20                                  // 000000002694: 262C2883
	v_mul_i32_i24_e32 v22, 0x488, v22                          // 000000002698: 0C2C2CFF 00000488
	v_add_u32_e32 v4, v22, v21                                 // 0000000026A0: 68082B16
	v_lshrrev_b32_e32 v20, 2, v20                              // 0000000026A4: 20282882
	v_and_b32_e32 v21, 1, v20                                  // 0000000026A8: 262A2881
	v_mul_i32_i24_e32 v21, 32, v21                             // 0000000026AC: 0C2A2AA0
	v_add_u32_e32 v4, v4, v21                                  // 0000000026B0: 68082B04
	v_and_b32_e32 v21, 2, v20                                  // 0000000026B4: 262A2882
	v_mul_i32_i24_e32 v21, 0x120, v21                          // 0000000026B8: 0C2A2AFF 00000120
	v_add_u32_e32 v4, v4, v21                                  // 0000000026C0: 68082B04
	v_lshlrev_b32_e32 v4, 2, v4                                // 0000000026C4: 24080882
	v_lshrrev_b32_e32 v20, 4, v0                               // 0000000026C8: 20280084
	v_and_b32_e32 v21, 1, v20                                  // 0000000026CC: 262A2881
	v_mul_i32_i24_e32 v5, 32, v21                              // 0000000026D0: 0C0A2AA0
	v_and_b32_e32 v21, 2, v20                                  // 0000000026D4: 262A2882
	v_mul_i32_i24_e32 v21, 0x120, v21                          // 0000000026D8: 0C2A2AFF 00000120
	v_add_u32_e32 v5, v5, v21                                  // 0000000026E0: 680A2B05
	v_and_b32_e32 v20, 15, v0                                  // 0000000026E4: 2628008F
	v_mul_i32_i24_e32 v21, 2, v20                              // 0000000026E8: 0C2A2882
	v_add_u32_e32 v5, v5, v21                                  // 0000000026EC: 680A2B05
	s_mul_i32 s56, 64, s7                                      // 0000000026F0: 923807C0
	v_add_u32_e64 v5, v5, s56                                  // 0000000026F4: D1340005 00007105
	v_lshlrev_b32_e32 v5, 2, v5                                // 0000000026FC: 240A0A82
	v_lshlrev_b32_e32 v6, 2, v0                                // 000000002700: 240C0082
	s_mul_i32 s56, 0x200, s7                                   // 000000002704: 923807FF 00000200
	v_add_u32_e64 v6, v6, s56                                  // 00000000270C: D1340006 00007106
	v_lshlrev_b32_e32 v6, 2, v6                                // 000000002714: 240C0C82
	v_lshlrev_b32_e32 v7, 4, v0                                // 000000002718: 240E0084
	v_mul_u32_u24_dpp v18, v11, v9 row_newbcast:0 row_mask:0xf bank_mask:0xf// 00000000271C: 102412FA FF01500B
	v_mul_u32_u24_dpp v19, v11, v9 row_newbcast:8 row_mask:0xf bank_mask:0xf// 000000002724: 102612FA FF01580B
	v_add_u32_e32 v18, v18, v1                                 // 00000000272C: 68240312
	v_add_u32_e32 v19, v19, v1                                 // 000000002730: 68260313
	s_mov_b32 m0, s36                                          // 000000002734: BEFC0024
	buffer_load_dword v11, v8, s[24:27], 0 offen               // 000000002738: E0501000 80060B08
	v_add_u32_e32 v8, s73, v8                                  // 000000002740: 68101049
	buffer_load_dword v18, s[20:23], 0 offen lds               // 000000002744: E0511000 80050012
	s_add_u32 m0, 0, s37                                       // 00000000274C: 807C2580
	buffer_load_dword v19, s[20:23], 0 offen lds               // 000000002750: E0511000 80050013
	s_add_u32 m0, 0x80, s36                                    // 000000002758: 807C24FF 00000080
	buffer_load_dword v18, s[20:23], 0 offen offset:128 lds    // 000000002760: E0511080 80050012
	s_add_u32 m0, 0x80, s37                                    // 000000002768: 807C25FF 00000080
	buffer_load_dword v19, s[20:23], 0 offen offset:128 lds    // 000000002770: E0511080 80050013
	s_add_u32 m0, 0x100, s36                                   // 000000002778: 807C24FF 00000100
	buffer_load_dword v18, s[20:23], 0 offen offset:256 lds    // 000000002780: E0511100 80050012
	s_add_u32 m0, 0x100, s37                                   // 000000002788: 807C25FF 00000100
	buffer_load_dword v19, s[20:23], 0 offen offset:256 lds    // 000000002790: E0511100 80050013
	s_add_u32 m0, 0x180, s36                                   // 000000002798: 807C24FF 00000180
	buffer_load_dword v18, s[20:23], 0 offen offset:384 lds    // 0000000027A0: E0511180 80050012
	s_add_u32 m0, 0x180, s37                                   // 0000000027A8: 807C25FF 00000180
	buffer_load_dword v19, s[20:23], 0 offen offset:384 lds    // 0000000027B0: E0511180 80050013
	s_add_u32 m0, 0x200, s36                                   // 0000000027B8: 807C24FF 00000200
	buffer_load_dword v18, s[20:23], 0 offen offset:512 lds    // 0000000027C0: E0511200 80050012
	s_add_u32 m0, 0x200, s37                                   // 0000000027C8: 807C25FF 00000200
	buffer_load_dword v19, s[20:23], 0 offen offset:512 lds    // 0000000027D0: E0511200 80050013
	s_add_u32 m0, 0x280, s36                                   // 0000000027D8: 807C24FF 00000280
	buffer_load_dword v18, s[20:23], 0 offen offset:640 lds    // 0000000027E0: E0511280 80050012
	s_add_u32 m0, 0x280, s37                                   // 0000000027E8: 807C25FF 00000280
	buffer_load_dword v19, s[20:23], 0 offen offset:640 lds    // 0000000027F0: E0511280 80050013
	s_add_u32 m0, 0x300, s36                                   // 0000000027F8: 807C24FF 00000300
	buffer_load_dword v18, s[20:23], 0 offen offset:768 lds    // 000000002800: E0511300 80050012
	s_add_u32 m0, 0x300, s37                                   // 000000002808: 807C25FF 00000300
	buffer_load_dword v19, s[20:23], 0 offen offset:768 lds    // 000000002810: E0511300 80050013
	s_add_u32 m0, 0x380, s36                                   // 000000002818: 807C24FF 00000380
	buffer_load_dword v18, s[20:23], 0 offen offset:896 lds    // 000000002820: E0511380 80050012
	s_add_u32 m0, 0x380, s37                                   // 000000002828: 807C25FF 00000380
	buffer_load_dword v19, s[20:23], 0 offen offset:896 lds    // 000000002830: E0511380 80050013
	s_add_u32 m0, 0x400, s36                                   // 000000002838: 807C24FF 00000400
	buffer_load_dword v18, s[20:23], 0 offen offset:1024 lds   // 000000002840: E0511400 80050012
	s_add_u32 m0, 0x400, s37                                   // 000000002848: 807C25FF 00000400
	buffer_load_dword v19, s[20:23], 0 offen offset:1024 lds   // 000000002850: E0511400 80050013
	s_add_u32 m0, 0x480, s36                                   // 000000002858: 807C24FF 00000480
	s_waitcnt vmcnt(19) lgkmcnt(0)                             // 000000002860: BF8C4073
	s_barrier                                                  // 000000002864: BF8A0000
	v_mul_u32_u24_dpp v18, v10, v9 row_newbcast:0 row_mask:0xf bank_mask:0xf// 000000002868: 102412FA FF01500A
	v_mul_u32_u24_dpp v19, v10, v9 row_newbcast:8 row_mask:0xf bank_mask:0xf// 000000002870: 102612FA FF01580A
	v_add_u32_e32 v18, v18, v1                                 // 000000002878: 68240312
	v_add_u32_e32 v19, v19, v1                                 // 00000000287C: 68260313
	s_mov_b32 m0, s34                                          // 000000002880: BEFC0022
	ds_read_b128 a[144:147], v4                                // 000000002884: DBFE0000 90000004
	ds_read_b128 a[148:151], v4 offset:64                      // 00000000288C: DBFE0040 94000004
	ds_read_b128 a[152:155], v4 offset:256                     // 000000002894: DBFE0100 98000004
	ds_read_b128 a[156:159], v4 offset:320                     // 00000000289C: DBFE0140 9C000004
	ds_read_b128 a[160:163], v4 offset:512                     // 0000000028A4: DBFE0200 A0000004
	ds_read_b128 a[164:167], v4 offset:576                     // 0000000028AC: DBFE0240 A4000004
	ds_read_b128 a[168:171], v4 offset:768                     // 0000000028B4: DBFE0300 A8000004
	ds_read_b128 a[172:175], v4 offset:832                     // 0000000028BC: DBFE0340 AC000004
	ds_read_b128 a[176:179], v4 offset:1024                    // 0000000028C4: DBFE0400 B0000004
	ds_read_b128 a[180:183], v4 offset:1088                    // 0000000028CC: DBFE0440 B4000004
	ds_read_b128 a[184:187], v4 offset:1280                    // 0000000028D4: DBFE0500 B8000004
	ds_read_b128 a[188:191], v4 offset:1344                    // 0000000028DC: DBFE0540 BC000004
	ds_read_b128 a[192:195], v4 offset:1536                    // 0000000028E4: DBFE0600 C0000004
	ds_read_b128 a[196:199], v4 offset:1600                    // 0000000028EC: DBFE0640 C4000004
	ds_read_b128 a[200:203], v4 offset:1792                    // 0000000028F4: DBFE0700 C8000004
	ds_read_b128 a[204:207], v4 offset:1856                    // 0000000028FC: DBFE0740 CC000004
	ds_read_b128 a[208:211], v4 offset:2048                    // 000000002904: DBFE0800 D0000004
	ds_read_b128 a[212:215], v4 offset:2112                    // 00000000290C: DBFE0840 D4000004
	ds_read_b64 v[20:21], v5                                   // 000000002914: D8EC0000 14000005
	ds_read_b64 v[22:23], v5 offset:4640                       // 00000000291C: D8EC1220 16000005
	ds_read_b64 v[24:25], v5 offset:9280                       // 000000002924: D8EC2440 18000005
	ds_read_b64 v[26:27], v5 offset:13920                      // 00000000292C: D8EC3660 1A000005
	s_waitcnt lgkmcnt(0)                                       // 000000002934: BF8CC07F
	v_perm_b32 v28, v22, v20, s53                              // 000000002938: D1ED001C 00D62916
	v_perm_b32 v30, v22, v20, s52                              // 000000002940: D1ED001E 00D22916
	v_perm_b32 v29, v26, v24, s53                              // 000000002948: D1ED001D 00D6311A
	v_perm_b32 v31, v26, v24, s52                              // 000000002950: D1ED001F 00D2311A
	ds_write_b128 v6, v[28:31] offset:37120                    // 000000002958: D9BE9100 00001C06
	v_perm_b32 v28, v23, v21, s53                              // 000000002960: D1ED001C 00D62B17
	v_perm_b32 v30, v23, v21, s52                              // 000000002968: D1ED001E 00D22B17
	v_perm_b32 v29, v27, v25, s53                              // 000000002970: D1ED001D 00D6331B
	v_perm_b32 v31, v27, v25, s52                              // 000000002978: D1ED001F 00D2331B
	ds_write_b128 v6, v[28:31] offset:38144                    // 000000002980: D9BE9500 00001C06
	ds_read_b64 v[20:21], v5 offset:1024                       // 000000002988: D8EC0400 14000005
	ds_read_b64 v[22:23], v5 offset:5664                       // 000000002990: D8EC1620 16000005
	ds_read_b64 v[24:25], v5 offset:10304                      // 000000002998: D8EC2840 18000005
	ds_read_b64 v[26:27], v5 offset:14944                      // 0000000029A0: D8EC3A60 1A000005
	s_waitcnt lgkmcnt(0)                                       // 0000000029A8: BF8CC07F
	v_perm_b32 v28, v22, v20, s53                              // 0000000029AC: D1ED001C 00D62916
	v_perm_b32 v30, v22, v20, s52                              // 0000000029B4: D1ED001E 00D22916
	v_perm_b32 v29, v26, v24, s53                              // 0000000029BC: D1ED001D 00D6311A
	v_perm_b32 v31, v26, v24, s52                              // 0000000029C4: D1ED001F 00D2311A
	ds_write_b128 v6, v[28:31] offset:45312                    // 0000000029CC: D9BEB100 00001C06
	v_perm_b32 v28, v23, v21, s53                              // 0000000029D4: D1ED001C 00D62B17
	v_perm_b32 v30, v23, v21, s52                              // 0000000029DC: D1ED001E 00D22B17
	v_perm_b32 v29, v27, v25, s53                              // 0000000029E4: D1ED001D 00D6331B
	v_perm_b32 v31, v27, v25, s52                              // 0000000029EC: D1ED001F 00D2331B
	ds_write_b128 v6, v[28:31] offset:46336                    // 0000000029F4: D9BEB500 00001C06
	s_cmp_lt_u32 s71, 1                                        // 0000000029FC: BF0A8147
	s_cbranch_scc1 label_177A                                  // 000000002A00: BF8510F9
	s_cmp_lt_i32 s7, 2                                         // 000000002A04: BF048207
	s_cbranch_scc0 label_0EFF                                  // 000000002A08: BF84087C

0000000000002a0c <label_0683>:
	s_waitcnt lgkmcnt(4)                                       // 000000002A0C: BF8CC47F
	v_mfma_f32_16x16x16_bf16 v[32:35], a[144:145], a[0:1], 0   // 000000002A10: D3E10020 1A020190
	ds_read_b128 a[176:179], v4 offset:1024                    // 000000002A18: DBFE0400 B0000004
	ds_read_b128 a[180:183], v4 offset:1088                    // 000000002A20: DBFE0440 B4000004
	v_mfma_f32_16x16x16_bf16 v[32:35], a[146:147], a[2:3], v[32:35]// 000000002A28: D3E10020 1C820592
	buffer_load_dword v10, v8, s[24:27], 0 offen               // 000000002A30: E0501000 80060A08
	v_mfma_f32_16x16x16_bf16 v[32:35], a[148:149], a[4:5], v[32:35]// 000000002A38: D3E10020 1C820994
	v_mfma_f32_16x16x16_bf16 v[32:35], a[150:151], a[6:7], v[32:35]// 000000002A40: D3E10020 1C820D96
	v_mfma_f32_16x16x16_bf16 v[32:35], a[152:153], a[8:9], v[32:35]// 000000002A48: D3E10020 1C821198
	ds_read_b128 a[184:187], v4 offset:1280                    // 000000002A50: DBFE0500 B8000004
	ds_read_b128 a[188:191], v4 offset:1344                    // 000000002A58: DBFE0540 BC000004
	v_mfma_f32_16x16x16_bf16 v[32:35], a[154:155], a[10:11], v[32:35]// 000000002A60: D3E10020 1C82159A
	v_mfma_f32_16x16x16_bf16 v[32:35], a[156:157], a[12:13], v[32:35]// 000000002A68: D3E10020 1C82199C
	v_mfma_f32_16x16x16_bf16 v[32:35], a[158:159], a[14:15], v[32:35]// 000000002A70: D3E10020 1C821D9E
	s_waitcnt lgkmcnt(4)                                       // 000000002A78: BF8CC47F
	v_mfma_f32_16x16x16_bf16 v[32:35], a[160:161], a[16:17], v[32:35]// 000000002A7C: D3E10020 1C8221A0
	ds_read_b128 a[192:195], v4 offset:1536                    // 000000002A84: DBFE0600 C0000004
	ds_read_b128 a[196:199], v4 offset:1600                    // 000000002A8C: DBFE0640 C4000004
	v_mfma_f32_16x16x16_bf16 v[32:35], a[162:163], a[18:19], v[32:35]// 000000002A94: D3E10020 1C8225A2
	v_mfma_f32_16x16x16_bf16 v[32:35], a[164:165], a[20:21], v[32:35]// 000000002A9C: D3E10020 1C8229A4
	v_mfma_f32_16x16x16_bf16 v[32:35], a[166:167], a[22:23], v[32:35]// 000000002AA4: D3E10020 1C822DA6
	v_mfma_f32_16x16x16_bf16 v[32:35], a[168:169], a[24:25], v[32:35]// 000000002AAC: D3E10020 1C8231A8
	ds_read_b128 a[200:203], v4 offset:1792                    // 000000002AB4: DBFE0700 C8000004
	ds_read_b128 a[204:207], v4 offset:1856                    // 000000002ABC: DBFE0740 CC000004
	v_mfma_f32_16x16x16_bf16 v[32:35], a[170:171], a[26:27], v[32:35]// 000000002AC4: D3E10020 1C8235AA
	v_mfma_f32_16x16x16_bf16 v[32:35], a[172:173], a[28:29], v[32:35]// 000000002ACC: D3E10020 1C8239AC
	v_mfma_f32_16x16x16_bf16 v[32:35], a[174:175], a[30:31], v[32:35]// 000000002AD4: D3E10020 1C823DAE
	s_waitcnt lgkmcnt(4)                                       // 000000002ADC: BF8CC47F
	s_barrier                                                  // 000000002AE0: BF8A0000
	v_mfma_f32_16x16x16_bf16 v[32:35], a[176:177], a[32:33], v[32:35]// 000000002AE4: D3E10020 1C8241B0
	ds_read_b128 a[208:211], v4 offset:2048                    // 000000002AEC: DBFE0800 D0000004
	ds_read_b128 a[212:215], v4 offset:2112                    // 000000002AF4: DBFE0840 D4000004
	v_mfma_f32_16x16x16_bf16 v[32:35], a[178:179], a[34:35], v[32:35]// 000000002AFC: D3E10020 1C8245B2
	v_mfma_f32_16x16x16_bf16 v[32:35], a[180:181], a[36:37], v[32:35]// 000000002B04: D3E10020 1C8249B4
	v_perm_b32 v28, v22, v20, s53                              // 000000002B0C: D1ED001C 00D62916
	v_perm_b32 v30, v22, v20, s52                              // 000000002B14: D1ED001E 00D22916
	v_perm_b32 v29, v26, v24, s53                              // 000000002B1C: D1ED001D 00D6311A
	v_perm_b32 v31, v26, v24, s52                              // 000000002B24: D1ED001F 00D2311A
	v_mfma_f32_16x16x16_bf16 v[32:35], a[182:183], a[38:39], v[32:35]// 000000002B2C: D3E10020 1C824DB6
	buffer_load_dword v18, s[20:23], 0 offen lds               // 000000002B34: E0511000 80050012
	s_add_u32 m0, 0, s35                                       // 000000002B3C: 807C2380
	v_mfma_f32_16x16x16_bf16 v[32:35], a[184:185], a[40:41], v[32:35]// 000000002B40: D3E10020 1C8251B8
	ds_write_b128 v6, v[28:31] offset:45312                    // 000000002B48: D9BEB100 00001C06
	v_mfma_f32_16x16x16_bf16 v[32:35], a[186:187], a[42:43], v[32:35]// 000000002B50: D3E10020 1C8255BA
	buffer_load_dword v19, s[20:23], 0 offen lds               // 000000002B58: E0511000 80050013
	s_add_u32 m0, 0x80, s34                                    // 000000002B60: 807C22FF 00000080
	v_mfma_f32_16x16x16_bf16 v[32:35], a[188:189], a[44:45], v[32:35]// 000000002B68: D3E10020 1C8259BC
	v_perm_b32 v28, v23, v21, s53                              // 000000002B70: D1ED001C 00D62B17
	v_perm_b32 v30, v23, v21, s52                              // 000000002B78: D1ED001E 00D22B17
	v_perm_b32 v29, v27, v25, s53                              // 000000002B80: D1ED001D 00D6331B
	v_perm_b32 v31, v27, v25, s52                              // 000000002B88: D1ED001F 00D2331B
	v_mfma_f32_16x16x16_bf16 v[32:35], a[190:191], a[46:47], v[32:35]// 000000002B90: D3E10020 1C825DBE
	buffer_load_dword v18, s[20:23], 0 offen offset:128 lds    // 000000002B98: E0511080 80050012
	s_add_u32 m0, 0x80, s35                                    // 000000002BA0: 807C23FF 00000080
	s_waitcnt lgkmcnt(1)                                       // 000000002BA8: BF8CC17F
	v_mfma_f32_16x16x16_bf16 v[32:35], a[192:193], a[48:49], v[32:35]// 000000002BAC: D3E10020 1C8261C0
	ds_write_b128 v6, v[28:31] offset:46336                    // 000000002BB4: D9BEB500 00001C06
	v_mfma_f32_16x16x16_bf16 v[32:35], a[194:195], a[50:51], v[32:35]// 000000002BBC: D3E10020 1C8265C2
	buffer_load_dword v19, s[20:23], 0 offen offset:128 lds    // 000000002BC4: E0511080 80050013
	s_add_u32 m0, 0x100, s34                                   // 000000002BCC: 807C22FF 00000100
	v_mfma_f32_16x16x16_bf16 v[32:35], a[196:197], a[52:53], v[32:35]// 000000002BD4: D3E10020 1C8269C4
	v_mfma_f32_16x16x16_bf16 v[32:35], a[198:199], a[54:55], v[32:35]// 000000002BDC: D3E10020 1C826DC6
	buffer_load_dword v18, s[20:23], 0 offen offset:256 lds    // 000000002BE4: E0511100 80050012
	s_add_u32 m0, 0x100, s35                                   // 000000002BEC: 807C23FF 00000100
	v_mfma_f32_16x16x16_bf16 v[32:35], a[200:201], a[56:57], v[32:35]// 000000002BF4: D3E10020 1C8271C8
	v_mfma_f32_16x16x16_bf16 v[32:35], a[202:203], a[58:59], v[32:35]// 000000002BFC: D3E10020 1C8275CA
	buffer_load_dword v19, s[20:23], 0 offen offset:256 lds    // 000000002C04: E0511100 80050013
	s_add_u32 m0, 0x180, s34                                   // 000000002C0C: 807C22FF 00000180
	v_mfma_f32_16x16x16_bf16 v[32:35], a[204:205], a[60:61], v[32:35]// 000000002C14: D3E10020 1C8279CC
	v_mfma_f32_16x16x16_bf16 v[32:35], a[206:207], a[62:63], v[32:35]// 000000002C1C: D3E10020 1C827DCE
	buffer_load_dword v18, s[20:23], 0 offen offset:384 lds    // 000000002C24: E0511180 80050012
	s_add_u32 m0, 0x180, s35                                   // 000000002C2C: 807C23FF 00000180
	v_mfma_f32_16x16x16_bf16 v[32:35], a[208:209], a[64:65], v[32:35]// 000000002C34: D3E10020 1C8281D0
	v_mfma_f32_16x16x16_bf16 v[32:35], a[210:211], a[66:67], v[32:35]// 000000002C3C: D3E10020 1C8285D2
	buffer_load_dword v19, s[20:23], 0 offen offset:384 lds    // 000000002C44: E0511180 80050013
	s_add_u32 m0, 0x200, s34                                   // 000000002C4C: 807C22FF 00000200
	v_mfma_f32_16x16x16_bf16 v[32:35], a[212:213], a[68:69], v[32:35]// 000000002C54: D3E10020 1C8289D4
	v_mfma_f32_16x16x16_bf16 v[32:35], a[214:215], a[70:71], v[32:35]// 000000002C5C: D3E10020 1C828DD6
	buffer_load_dword v18, s[20:23], 0 offen offset:512 lds    // 000000002C64: E0511200 80050012
	s_add_u32 m0, 0x200, s35                                   // 000000002C6C: 807C23FF 00000200
	v_add_u32_e32 v8, s73, v8                                  // 000000002C74: 68101049
	s_waitcnt lgkmcnt(0)                                       // 000000002C78: BF8CC07F
	s_barrier                                                  // 000000002C7C: BF8A0000
	v_mfma_f32_16x16x16_bf16 v[36:39], a[144:145], a[72:73], 0 // 000000002C80: D3E10024 1A029190
	v_mfma_f32_16x16x16_bf16 v[36:39], a[146:147], a[74:75], v[36:39]// 000000002C88: D3E10024 1C929592
	v_max3_f32 v24, v32, v33, v32                              // 000000002C90: D1D30018 04824320
	v_max3_f32 v24, v34, v35, v24                              // 000000002C98: D1D30018 04624722
	ds_write_b32 v3, v24 offset:53504                          // 000000002CA0: D81AD100 00001803
	v_mfma_f32_16x16x16_bf16 v[36:39], a[148:149], a[76:77], v[36:39]// 000000002CA8: D3E10024 1C929994
	v_mfma_f32_16x16x16_bf16 v[36:39], a[150:151], a[78:79], v[36:39]// 000000002CB0: D3E10024 1C929D96
	buffer_load_dword v19, s[20:23], 0 offen offset:512 lds    // 000000002CB8: E0511200 80050013
	s_add_u32 m0, 0x280, s34                                   // 000000002CC0: 807C22FF 00000280
	v_mfma_f32_16x16x16_bf16 v[36:39], a[152:153], a[80:81], v[36:39]// 000000002CC8: D3E10024 1C92A198
	v_mfma_f32_16x16x16_bf16 v[36:39], a[154:155], a[82:83], v[36:39]// 000000002CD0: D3E10024 1C92A59A
	buffer_load_dword v18, s[20:23], 0 offen offset:640 lds    // 000000002CD8: E0511280 80050012
	s_add_u32 m0, 0x280, s35                                   // 000000002CE0: 807C23FF 00000280
	v_mfma_f32_16x16x16_bf16 v[36:39], a[156:157], a[84:85], v[36:39]// 000000002CE8: D3E10024 1C92A99C
	s_waitcnt lgkmcnt(0)                                       // 000000002CF0: BF8CC07F
	ds_read_b32 v20, v2 offset:53504                           // 000000002CF4: D86CD100 14000002
	ds_read_b32 v21, v2 offset:53568                           // 000000002CFC: D86CD140 15000002
	v_mfma_f32_16x16x16_bf16 v[36:39], a[158:159], a[86:87], v[36:39]// 000000002D04: D3E10024 1C92AD9E
	ds_read_b32 v22, v2 offset:53632                           // 000000002D0C: D86CD180 16000002
	ds_read_b32 v23, v2 offset:53696                           // 000000002D14: D86CD1C0 17000002
	v_mfma_f32_16x16x16_bf16 v[36:39], a[160:161], a[88:89], v[36:39]// 000000002D1C: D3E10024 1C92B1A0
	v_mfma_f32_16x16x16_bf16 v[36:39], a[162:163], a[90:91], v[36:39]// 000000002D24: D3E10024 1C92B5A2
	buffer_load_dword v19, s[20:23], 0 offen offset:640 lds    // 000000002D2C: E0511280 80050013
	s_add_u32 m0, 0x300, s34                                   // 000000002D34: 807C22FF 00000300
	v_mfma_f32_16x16x16_bf16 v[36:39], a[164:165], a[92:93], v[36:39]// 000000002D3C: D3E10024 1C92B9A4
	v_mfma_f32_16x16x16_bf16 v[36:39], a[166:167], a[94:95], v[36:39]// 000000002D44: D3E10024 1C92BDA6
	buffer_load_dword v18, s[20:23], 0 offen offset:768 lds    // 000000002D4C: E0511300 80050012
	s_add_u32 m0, 0x300, s35                                   // 000000002D54: 807C23FF 00000300
	v_mfma_f32_16x16x16_bf16 v[36:39], a[168:169], a[96:97], v[36:39]// 000000002D5C: D3E10024 1C92C1A8
	v_mfma_f32_16x16x16_bf16 v[36:39], a[170:171], a[98:99], v[36:39]// 000000002D64: D3E10024 1C92C5AA
	buffer_load_dword v19, s[20:23], 0 offen offset:768 lds    // 000000002D6C: E0511300 80050013
	s_add_u32 m0, 0x380, s34                                   // 000000002D74: 807C22FF 00000380
	v_mfma_f32_16x16x16_bf16 v[36:39], a[172:173], a[100:101], v[36:39]// 000000002D7C: D3E10024 1C92C9AC
	s_waitcnt lgkmcnt(0)                                       // 000000002D84: BF8CC07F
	v_max3_f32 v24, v20, v21, v24                              // 000000002D88: D1D30018 04622B14
	v_max3_f32 v24, v22, v23, v24                              // 000000002D90: D1D30018 04622F16
	v_mfma_f32_16x16x16_bf16 v[36:39], a[174:175], a[102:103], v[36:39]// 000000002D98: D3E10024 1C92CDAE
	v_mfma_f32_16x16x16_bf16 v[36:39], a[176:177], a[104:105], v[36:39]// 000000002DA0: D3E10024 1C92D1B0
	v_mfma_f32_16x16x16_bf16 v[36:39], a[178:179], a[106:107], v[36:39]// 000000002DA8: D3E10024 1C92D5B2
	buffer_load_dword v18, s[20:23], 0 offen offset:896 lds    // 000000002DB0: E0511380 80050012
	s_add_u32 m0, 0x380, s35                                   // 000000002DB8: 807C23FF 00000380
	v_mfma_f32_16x16x16_bf16 v[36:39], a[180:181], a[108:109], v[36:39]// 000000002DC0: D3E10024 1C92D9B4
	v_mfma_f32_16x16x16_bf16 v[36:39], a[182:183], a[110:111], v[36:39]// 000000002DC8: D3E10024 1C92DDB6
	buffer_load_dword v19, s[20:23], 0 offen offset:896 lds    // 000000002DD0: E0511380 80050013
	s_add_u32 m0, 0x400, s34                                   // 000000002DD8: 807C22FF 00000400
	v_mfma_f32_16x16x16_bf16 v[36:39], a[184:185], a[112:113], v[36:39]// 000000002DE0: D3E10024 1C92E1B8
	ds_read_b128 a[144:147], v7 offset:37120                   // 000000002DE8: DBFE9100 90000007
	ds_read_b128 a[148:151], v7 offset:38144                   // 000000002DF0: DBFE9500 94000007
	v_mfma_f32_16x16x16_bf16 v[36:39], a[186:187], a[114:115], v[36:39]// 000000002DF8: D3E10024 1C92E5BA
	buffer_load_dword v18, s[20:23], 0 offen offset:1024 lds   // 000000002E00: E0511400 80050012
	s_add_u32 m0, 0x400, s35                                   // 000000002E08: 807C23FF 00000400
	v_mfma_f32_16x16x16_bf16 v[36:39], a[188:189], a[116:117], v[36:39]// 000000002E10: D3E10024 1C92E9BC
	v_mfma_f32_16x16x16_bf16 v[36:39], a[190:191], a[118:119], v[36:39]// 000000002E18: D3E10024 1C92EDBE
	v_mfma_f32_16x16x16_bf16 v[36:39], a[192:193], a[120:121], v[36:39]// 000000002E20: D3E10024 1C92F1C0
	ds_read_b128 a[152:155], v7 offset:39168                   // 000000002E28: DBFE9900 98000007
	ds_read_b128 a[156:159], v7 offset:40192                   // 000000002E30: DBFE9D00 9C000007
	v_mfma_f32_16x16x16_bf16 v[36:39], a[194:195], a[122:123], v[36:39]// 000000002E38: D3E10024 1C92F5C2
	buffer_load_dword v19, s[20:23], 0 offen offset:1024 lds   // 000000002E40: E0511400 80050013
	s_add_u32 m0, 0x480, s34                                   // 000000002E48: 807C22FF 00000480
	v_mfma_f32_16x16x16_bf16 v[36:39], a[196:197], a[124:125], v[36:39]// 000000002E50: D3E10024 1C92F9C4
	v_mfma_f32_16x16x16_bf16 v[36:39], a[198:199], a[126:127], v[36:39]// 000000002E58: D3E10024 1C92FDC6
	v_mfma_f32_16x16x16_bf16 v[36:39], a[200:201], a[128:129], v[36:39]// 000000002E60: D3E10024 1C9301C8
	ds_read_b128 a[160:163], v7 offset:41216                   // 000000002E68: DBFEA100 A0000007
	ds_read_b128 a[164:167], v7 offset:42240                   // 000000002E70: DBFEA500 A4000007
	v_mfma_f32_16x16x16_bf16 v[36:39], a[202:203], a[130:131], v[36:39]// 000000002E78: D3E10024 1C9305CA
	v_mfma_f32_16x16x16_bf16 v[36:39], a[204:205], a[132:133], v[36:39]// 000000002E80: D3E10024 1C9309CC
	v_mfma_f32_16x16x16_bf16 v[36:39], a[206:207], a[134:135], v[36:39]// 000000002E88: D3E10024 1C930DCE
	v_mfma_f32_16x16x16_bf16 v[36:39], a[208:209], a[136:137], v[36:39]// 000000002E90: D3E10024 1C9311D0
	ds_read_b128 a[168:171], v7 offset:43264                   // 000000002E98: DBFEA900 A8000007
	ds_read_b128 a[172:175], v7 offset:44288                   // 000000002EA0: DBFEAD00 AC000007
	v_mfma_f32_16x16x16_bf16 v[36:39], a[210:211], a[138:139], v[36:39]// 000000002EA8: D3E10024 1C9315D2
	v_mfma_f32_16x16x16_bf16 v[36:39], a[212:213], a[140:141], v[36:39]// 000000002EB0: D3E10024 1C9319D4
	v_mfma_f32_16x16x16_bf16 v[36:39], a[214:215], a[142:143], v[36:39]// 000000002EB8: D3E10024 1C931DD6
	v_mov_b32_e32 v25, 0xff7fffff                              // 000000002EC0: 7E3202FF FF7FFFFF
	v_cmp_eq_u32_e64 s[38:39], v25, v12                        // 000000002EC8: D0CA0026 00021919
	v_max_f32_e32 v20, v24, v12                                // 000000002ED0: 16281918
	v_sub_f32_e32 v16, v12, v20                                // 000000002ED4: 0420290C
	v_cndmask_b32_e64 v16, v16, 0, s[38:39]                    // 000000002ED8: D1000010 00990110
	v_mov_b32_e32 v12, v20                                     // 000000002EE0: 7E180314
	v_mul_f32_e32 v21, s5, v20                                 // 000000002EE4: 0A2A2805
	v_mul_f32_e32 v16, s5, v16                                 // 000000002EE8: 0A202005
	v_exp_f32_e32 v16, v16                                     // 000000002EEC: 7E204110
	v_fma_f32 v32, v32, s5, -v21                               // 000000002EF0: D1CB0020 84540B20
	v_fma_f32 v33, v33, s5, -v21                               // 000000002EF8: D1CB0021 84540B21
	v_fma_f32 v34, v34, s5, -v21                               // 000000002F00: D1CB0022 84540B22
	v_fma_f32 v35, v35, s5, -v21                               // 000000002F08: D1CB0023 84540B23
	v_exp_f32_e32 v32, v32                                     // 000000002F10: 7E404120
	v_exp_f32_e32 v33, v33                                     // 000000002F14: 7E424121
	v_exp_f32_e32 v34, v34                                     // 000000002F18: 7E444122
	v_exp_f32_e32 v35, v35                                     // 000000002F1C: 7E464123
	v_mul_f32_e32 v14, v16, v14                                // 000000002F20: 0A1C1D10
	v_mov_b32_e32 v22, v32                                     // 000000002F24: 7E2C0320
	v_add_f32_e32 v22, v33, v22                                // 000000002F28: 022C2D21
	v_add_f32_e32 v22, v34, v22                                // 000000002F2C: 022C2D22
	v_add_f32_e32 v22, v35, v22                                // 000000002F30: 022C2D23
	v_add_f32_e32 v14, v22, v14                                // 000000002F34: 021C1D16
	v_mov_b32_e32 v29, 0xffff0000                              // 000000002F38: 7E3A02FF FFFF0000
	v_mov_b32_e32 v30, 0x7fff0000                              // 000000002F40: 7E3C02FF 7FFF0000
	v_mov_b32_e32 v31, 0x7fff                                  // 000000002F48: 7E3E02FF 00007FFF
	v_cmp_u_f32_e64 s[38:39], v32, v32                         // 000000002F50: D0480026 00024120
	v_add3_u32 v28, v32, v31, 1                                // 000000002F58: D1FF001C 02063F20
	v_cndmask_b32_e64 v20, v28, v30, s[38:39]                  // 000000002F60: D1000014 009A3D1C
	v_cmp_u_f32_e64 s[38:39], v33, v33                         // 000000002F68: D0480026 00024321
	v_add3_u32 v28, v33, v31, 1                                // 000000002F70: D1FF001C 02063F21
	v_cndmask_b32_e64 v21, v28, v30, s[38:39]                  // 000000002F78: D1000015 009A3D1C
	v_perm_b32 v32, v21, v20, s52                              // 000000002F80: D1ED0020 00D22915
	v_cmp_u_f32_e64 s[38:39], v34, v34                         // 000000002F88: D0480026 00024522
	v_add3_u32 v28, v34, v31, 1                                // 000000002F90: D1FF001C 02063F22
	v_cndmask_b32_e64 v20, v28, v30, s[38:39]                  // 000000002F98: D1000014 009A3D1C
	v_cmp_u_f32_e64 s[38:39], v35, v35                         // 000000002FA0: D0480026 00024723
	v_add3_u32 v28, v35, v31, 1                                // 000000002FA8: D1FF001C 02063F23
	v_cndmask_b32_e64 v21, v28, v30, s[38:39]                  // 000000002FB0: D1000015 009A3D1C
	v_perm_b32 v33, v21, v20, s52                              // 000000002FB8: D1ED0021 00D22915
	s_nop 2                                                    // 000000002FC0: BF800002
	v_mul_u32_u24_dpp v18, v11, v9 row_newbcast:0 row_mask:0xf bank_mask:0xf// 000000002FC4: 102412FA FF01500B
	v_mul_u32_u24_dpp v19, v11, v9 row_newbcast:8 row_mask:0xf bank_mask:0xf// 000000002FCC: 102612FA FF01580B
	v_add_u32_e32 v18, v18, v1                                 // 000000002FD4: 68240312
	v_add_u32_e32 v19, v19, v1                                 // 000000002FD8: 68260313
	s_mov_b32 m0, s36                                          // 000000002FDC: BEFC0024
	v_mov_b32_e32 v22, v16                                     // 000000002FE0: 7E2C0310
	v_mov_b32_e32 v23, v16                                     // 000000002FE4: 7E2E0310
	v_pk_mul_f32 v[40:41], v[22:23], v[40:41]                  // 000000002FE8: D3B14028 18025116
	v_pk_mul_f32 v[42:43], v[22:23], v[42:43]                  // 000000002FF0: D3B1402A 18025516
	v_pk_mul_f32 v[44:45], v[22:23], v[44:45]                  // 000000002FF8: D3B1402C 18025916
	v_pk_mul_f32 v[46:47], v[22:23], v[46:47]                  // 000000003000: D3B1402E 18025D16
	v_pk_mul_f32 v[48:49], v[22:23], v[48:49]                  // 000000003008: D3B14030 18026116
	v_pk_mul_f32 v[50:51], v[22:23], v[50:51]                  // 000000003010: D3B14032 18026516
	v_pk_mul_f32 v[52:53], v[22:23], v[52:53]                  // 000000003018: D3B14034 18026916
	v_pk_mul_f32 v[54:55], v[22:23], v[54:55]                  // 000000003020: D3B14036 18026D16
	v_pk_mul_f32 v[56:57], v[22:23], v[56:57]                  // 000000003028: D3B14038 18027116
	v_pk_mul_f32 v[58:59], v[22:23], v[58:59]                  // 000000003030: D3B1403A 18027516
	v_pk_mul_f32 v[60:61], v[22:23], v[60:61]                  // 000000003038: D3B1403C 18027916
	v_pk_mul_f32 v[62:63], v[22:23], v[62:63]                  // 000000003040: D3B1403E 18027D16
	v_pk_mul_f32 v[64:65], v[22:23], v[64:65]                  // 000000003048: D3B14040 18028116
	v_pk_mul_f32 v[66:67], v[22:23], v[66:67]                  // 000000003050: D3B14042 18028516
	v_pk_mul_f32 v[68:69], v[22:23], v[68:69]                  // 000000003058: D3B14044 18028916
	v_pk_mul_f32 v[70:71], v[22:23], v[70:71]                  // 000000003060: D3B14046 18028D16
	v_pk_mul_f32 v[72:73], v[22:23], v[72:73]                  // 000000003068: D3B14048 18029116
	v_pk_mul_f32 v[74:75], v[22:23], v[74:75]                  // 000000003070: D3B1404A 18029516
	v_pk_mul_f32 v[76:77], v[22:23], v[76:77]                  // 000000003078: D3B1404C 18029916
	v_pk_mul_f32 v[78:79], v[22:23], v[78:79]                  // 000000003080: D3B1404E 18029D16
	v_pk_mul_f32 v[80:81], v[22:23], v[80:81]                  // 000000003088: D3B14050 1802A116
	v_pk_mul_f32 v[82:83], v[22:23], v[82:83]                  // 000000003090: D3B14052 1802A516
	v_pk_mul_f32 v[84:85], v[22:23], v[84:85]                  // 000000003098: D3B14054 1802A916
	v_pk_mul_f32 v[86:87], v[22:23], v[86:87]                  // 0000000030A0: D3B14056 1802AD16
	v_pk_mul_f32 v[88:89], v[22:23], v[88:89]                  // 0000000030A8: D3B14058 1802B116
	v_pk_mul_f32 v[90:91], v[22:23], v[90:91]                  // 0000000030B0: D3B1405A 1802B516
	v_pk_mul_f32 v[92:93], v[22:23], v[92:93]                  // 0000000030B8: D3B1405C 1802B916
	v_pk_mul_f32 v[94:95], v[22:23], v[94:95]                  // 0000000030C0: D3B1405E 1802BD16
	v_pk_mul_f32 v[96:97], v[22:23], v[96:97]                  // 0000000030C8: D3B14060 1802C116
	v_pk_mul_f32 v[98:99], v[22:23], v[98:99]                  // 0000000030D0: D3B14062 1802C516
	v_pk_mul_f32 v[100:101], v[22:23], v[100:101]              // 0000000030D8: D3B14064 1802C916
	v_pk_mul_f32 v[102:103], v[22:23], v[102:103]              // 0000000030E0: D3B14066 1802CD16
	v_pk_mul_f32 v[104:105], v[22:23], v[104:105]              // 0000000030E8: D3B14068 1802D116
	v_pk_mul_f32 v[106:107], v[22:23], v[106:107]              // 0000000030F0: D3B1406A 1802D516
	v_pk_mul_f32 v[108:109], v[22:23], v[108:109]              // 0000000030F8: D3B1406C 1802D916
	v_pk_mul_f32 v[110:111], v[22:23], v[110:111]              // 000000003100: D3B1406E 1802DD16
	v_pk_mul_f32 v[112:113], v[22:23], v[112:113]              // 000000003108: D3B14070 1802E116
	v_pk_mul_f32 v[114:115], v[22:23], v[114:115]              // 000000003110: D3B14072 1802E516
	v_pk_mul_f32 v[116:117], v[22:23], v[116:117]              // 000000003118: D3B14074 1802E916
	v_pk_mul_f32 v[118:119], v[22:23], v[118:119]              // 000000003120: D3B14076 1802ED16
	v_pk_mul_f32 v[120:121], v[22:23], v[120:121]              // 000000003128: D3B14078 1802F116
	v_pk_mul_f32 v[122:123], v[22:23], v[122:123]              // 000000003130: D3B1407A 1802F516
	v_pk_mul_f32 v[124:125], v[22:23], v[124:125]              // 000000003138: D3B1407C 1802F916
	v_pk_mul_f32 v[126:127], v[22:23], v[126:127]              // 000000003140: D3B1407E 1802FD16
	v_pk_mul_f32 v[128:129], v[22:23], v[128:129]              // 000000003148: D3B14080 18030116
	v_pk_mul_f32 v[130:131], v[22:23], v[130:131]              // 000000003150: D3B14082 18030516
	v_pk_mul_f32 v[132:133], v[22:23], v[132:133]              // 000000003158: D3B14084 18030916
	v_pk_mul_f32 v[134:135], v[22:23], v[134:135]              // 000000003160: D3B14086 18030D16
	v_pk_mul_f32 v[136:137], v[22:23], v[136:137]              // 000000003168: D3B14088 18031116
	v_pk_mul_f32 v[138:139], v[22:23], v[138:139]              // 000000003170: D3B1408A 18031516
	v_pk_mul_f32 v[140:141], v[22:23], v[140:141]              // 000000003178: D3B1408C 18031916
	v_pk_mul_f32 v[142:143], v[22:23], v[142:143]              // 000000003180: D3B1408E 18031D16
	v_pk_mul_f32 v[144:145], v[22:23], v[144:145]              // 000000003188: D3B14090 18032116
	v_pk_mul_f32 v[146:147], v[22:23], v[146:147]              // 000000003190: D3B14092 18032516
	v_accvgpr_read_b32 v20, a216                               // 000000003198: D3D84014 180001D8
	v_accvgpr_read_b32 v21, a217                               // 0000000031A0: D3D84015 180001D9
	v_pk_mul_f32 v[20:21], v[22:23], v[20:21]                  // 0000000031A8: D3B14014 18022916
	v_accvgpr_write_b32 a216, v20                              // 0000000031B0: D3D940D8 18000114
	v_accvgpr_write_b32 a217, v21                              // 0000000031B8: D3D940D9 18000115
	v_accvgpr_read_b32 v20, a218                               // 0000000031C0: D3D84014 180001DA
	v_accvgpr_read_b32 v21, a219                               // 0000000031C8: D3D84015 180001DB
	v_pk_mul_f32 v[20:21], v[22:23], v[20:21]                  // 0000000031D0: D3B14014 18022916
	v_accvgpr_write_b32 a218, v20                              // 0000000031D8: D3D940DA 18000114
	v_accvgpr_write_b32 a219, v21                              // 0000000031E0: D3D940DB 18000115
	v_accvgpr_read_b32 v20, a220                               // 0000000031E8: D3D84014 180001DC
	v_accvgpr_read_b32 v21, a221                               // 0000000031F0: D3D84015 180001DD
	v_pk_mul_f32 v[20:21], v[22:23], v[20:21]                  // 0000000031F8: D3B14014 18022916
	v_accvgpr_write_b32 a220, v20                              // 000000003200: D3D940DC 18000114
	v_accvgpr_write_b32 a221, v21                              // 000000003208: D3D940DD 18000115
	v_accvgpr_read_b32 v20, a222                               // 000000003210: D3D84014 180001DE
	v_accvgpr_read_b32 v21, a223                               // 000000003218: D3D84015 180001DF
	v_pk_mul_f32 v[20:21], v[22:23], v[20:21]                  // 000000003220: D3B14014 18022916
	v_accvgpr_write_b32 a222, v20                              // 000000003228: D3D940DE 18000114
	v_accvgpr_write_b32 a223, v21                              // 000000003230: D3D940DF 18000115
	v_accvgpr_read_b32 v20, a224                               // 000000003238: D3D84014 180001E0
	v_accvgpr_read_b32 v21, a225                               // 000000003240: D3D84015 180001E1
	v_pk_mul_f32 v[20:21], v[22:23], v[20:21]                  // 000000003248: D3B14014 18022916
	v_accvgpr_write_b32 a224, v20                              // 000000003250: D3D940E0 18000114
	v_accvgpr_write_b32 a225, v21                              // 000000003258: D3D940E1 18000115
	v_accvgpr_read_b32 v20, a226                               // 000000003260: D3D84014 180001E2
	v_accvgpr_read_b32 v21, a227                               // 000000003268: D3D84015 180001E3
	v_pk_mul_f32 v[20:21], v[22:23], v[20:21]                  // 000000003270: D3B14014 18022916
	v_accvgpr_write_b32 a226, v20                              // 000000003278: D3D940E2 18000114
	v_accvgpr_write_b32 a227, v21                              // 000000003280: D3D940E3 18000115
	v_accvgpr_read_b32 v20, a228                               // 000000003288: D3D84014 180001E4
	v_accvgpr_read_b32 v21, a229                               // 000000003290: D3D84015 180001E5
	v_pk_mul_f32 v[20:21], v[22:23], v[20:21]                  // 000000003298: D3B14014 18022916
	v_accvgpr_write_b32 a228, v20                              // 0000000032A0: D3D940E4 18000114
	v_accvgpr_write_b32 a229, v21                              // 0000000032A8: D3D940E5 18000115
	v_accvgpr_read_b32 v20, a230                               // 0000000032B0: D3D84014 180001E6
	v_accvgpr_read_b32 v21, a231                               // 0000000032B8: D3D84015 180001E7
	v_pk_mul_f32 v[20:21], v[22:23], v[20:21]                  // 0000000032C0: D3B14014 18022916
	v_accvgpr_write_b32 a230, v20                              // 0000000032C8: D3D940E6 18000114
	v_accvgpr_write_b32 a231, v21                              // 0000000032D0: D3D940E7 18000115
	v_accvgpr_read_b32 v20, a232                               // 0000000032D8: D3D84014 180001E8
	v_accvgpr_read_b32 v21, a233                               // 0000000032E0: D3D84015 180001E9
	v_pk_mul_f32 v[20:21], v[22:23], v[20:21]                  // 0000000032E8: D3B14014 18022916
	v_accvgpr_write_b32 a232, v20                              // 0000000032F0: D3D940E8 18000114
	v_accvgpr_write_b32 a233, v21                              // 0000000032F8: D3D940E9 18000115
	v_accvgpr_read_b32 v20, a234                               // 000000003300: D3D84014 180001EA
	v_accvgpr_read_b32 v21, a235                               // 000000003308: D3D84015 180001EB
	v_pk_mul_f32 v[20:21], v[22:23], v[20:21]                  // 000000003310: D3B14014 18022916
	v_accvgpr_write_b32 a234, v20                              // 000000003318: D3D940EA 18000114
	v_accvgpr_write_b32 a235, v21                              // 000000003320: D3D940EB 18000115
	s_waitcnt lgkmcnt(0)                                       // 000000003328: BF8CC07F
	v_mfma_f32_16x16x16_bf16 v[40:43], a[144:145], v[32:33], v[40:43]// 00000000332C: D3E10028 0CA24190
	ds_read_b128 a[176:179], v7 offset:45312                   // 000000003334: DBFEB100 B0000007
	ds_read_b128 a[180:183], v7 offset:46336                   // 00000000333C: DBFEB500 B4000007
	v_mfma_f32_16x16x16_bf16 v[44:47], a[146:147], v[32:33], v[44:47]// 000000003344: D3E1002C 0CB24192
	v_mfma_f32_16x16x16_bf16 v[48:51], a[148:149], v[32:33], v[48:51]// 00000000334C: D3E10030 0CC24194
	v_mfma_f32_16x16x16_bf16 v[52:55], a[150:151], v[32:33], v[52:55]// 000000003354: D3E10034 0CD24196
	v_mfma_f32_16x16x16_bf16 v[56:59], a[152:153], v[32:33], v[56:59]// 00000000335C: D3E10038 0CE24198
	ds_read_b128 a[184:187], v7 offset:47360                   // 000000003364: DBFEB900 B8000007
	ds_read_b128 a[188:191], v7 offset:48384                   // 00000000336C: DBFEBD00 BC000007
	v_mfma_f32_16x16x16_bf16 v[60:63], a[154:155], v[32:33], v[60:63]// 000000003374: D3E1003C 0CF2419A
	v_mfma_f32_16x16x16_bf16 v[64:67], a[156:157], v[32:33], v[64:67]// 00000000337C: D3E10040 0D02419C
	v_mfma_f32_16x16x16_bf16 v[68:71], a[158:159], v[32:33], v[68:71]// 000000003384: D3E10044 0D12419E
	v_mfma_f32_16x16x16_bf16 v[72:75], a[160:161], v[32:33], v[72:75]// 00000000338C: D3E10048 0D2241A0
	ds_read_b128 a[192:195], v7 offset:49408                   // 000000003394: DBFEC100 C0000007
	ds_read_b128 a[196:199], v7 offset:50432                   // 00000000339C: DBFEC500 C4000007
	v_mfma_f32_16x16x16_bf16 v[76:79], a[162:163], v[32:33], v[76:79]// 0000000033A4: D3E1004C 0D3241A2
	v_mfma_f32_16x16x16_bf16 v[80:83], a[164:165], v[32:33], v[80:83]// 0000000033AC: D3E10050 0D4241A4
	v_mfma_f32_16x16x16_bf16 v[84:87], a[166:167], v[32:33], v[84:87]// 0000000033B4: D3E10054 0D5241A6
	v_mfma_f32_16x16x16_bf16 v[88:91], a[168:169], v[32:33], v[88:91]// 0000000033BC: D3E10058 0D6241A8
	ds_read_b128 a[200:203], v7 offset:51456                   // 0000000033C4: DBFEC900 C8000007
	ds_read_b128 a[204:207], v7 offset:52480                   // 0000000033CC: DBFECD00 CC000007
	v_mfma_f32_16x16x16_bf16 v[92:95], a[170:171], v[32:33], v[92:95]// 0000000033D4: D3E1005C 0D7241AA
	v_mfma_f32_16x16x16_bf16 v[96:99], a[172:173], v[32:33], v[96:99]// 0000000033DC: D3E10060 0D8241AC
	v_mfma_f32_16x16x16_bf16 v[100:103], a[174:175], v[32:33], v[100:103]// 0000000033E4: D3E10064 0D9241AE
	s_waitcnt lgkmcnt(4)                                       // 0000000033EC: BF8CC47F
	v_mfma_f32_16x16x16_bf16 v[104:107], a[176:177], v[32:33], v[104:107]// 0000000033F0: D3E10068 0DA241B0
	v_max3_f32 v24, v36, v37, v36                              // 0000000033F8: D1D30018 04924B24
	v_max3_f32 v24, v38, v39, v24                              // 000000003400: D1D30018 04624F26
	ds_write_b32 v3, v24 offset:54528                          // 000000003408: D81AD500 00001803
	v_mfma_f32_16x16x16_bf16 v[108:111], a[178:179], v[32:33], v[108:111]// 000000003410: D3E1006C 0DB241B2
	v_mfma_f32_16x16x16_bf16 v[112:115], a[180:181], v[32:33], v[112:115]// 000000003418: D3E10070 0DC241B4
	v_mfma_f32_16x16x16_bf16 v[116:119], a[182:183], v[32:33], v[116:119]// 000000003420: D3E10074 0DD241B6
	v_mfma_f32_16x16x16_bf16 v[120:123], a[184:185], v[32:33], v[120:123]// 000000003428: D3E10078 0DE241B8
	v_mfma_f32_16x16x16_bf16 v[124:127], a[186:187], v[32:33], v[124:127]// 000000003430: D3E1007C 0DF241BA
	v_mfma_f32_16x16x16_bf16 v[128:131], a[188:189], v[32:33], v[128:131]// 000000003438: D3E10080 0E0241BC
	v_mfma_f32_16x16x16_bf16 v[132:135], a[190:191], v[32:33], v[132:135]// 000000003440: D3E10084 0E1241BE
	s_waitcnt lgkmcnt(0)                                       // 000000003448: BF8CC07F
	v_mfma_f32_16x16x16_bf16 v[136:139], a[192:193], v[32:33], v[136:139]// 00000000344C: D3E10088 0E2241C0
	s_waitcnt lgkmcnt(0)                                       // 000000003454: BF8CC07F
	ds_read_b32 v20, v2 offset:54528                           // 000000003458: D86CD500 14000002
	ds_read_b32 v21, v2 offset:54592                           // 000000003460: D86CD540 15000002
	v_mfma_f32_16x16x16_bf16 v[140:143], a[194:195], v[32:33], v[140:143]// 000000003468: D3E1008C 0E3241C2
	ds_read_b32 v22, v2 offset:54656                           // 000000003470: D86CD580 16000002
	ds_read_b32 v23, v2 offset:54720                           // 000000003478: D86CD5C0 17000002
	v_mfma_f32_16x16x16_bf16 v[144:147], a[196:197], v[32:33], v[144:147]// 000000003480: D3E10090 0E4241C4
	v_mfma_f32_16x16x16_bf16 a[216:219], a[198:199], v[32:33], a[216:219]// 000000003488: D3E180D8 0F6241C6
	v_mfma_f32_16x16x16_bf16 a[220:223], a[200:201], v[32:33], a[220:223]// 000000003490: D3E180DC 0F7241C8
	v_mfma_f32_16x16x16_bf16 a[224:227], a[202:203], v[32:33], a[224:227]// 000000003498: D3E180E0 0F8241CA
	v_mfma_f32_16x16x16_bf16 a[228:231], a[204:205], v[32:33], a[228:231]// 0000000034A0: D3E180E4 0F9241CC
	v_mfma_f32_16x16x16_bf16 a[232:235], a[206:207], v[32:33], a[232:235]// 0000000034A8: D3E180E8 0FA241CE
	s_waitcnt lgkmcnt(0)                                       // 0000000034B0: BF8CC07F
	v_max3_f32 v24, v20, v21, v24                              // 0000000034B4: D1D30018 04622B14
	v_max3_f32 v24, v22, v23, v24                              // 0000000034BC: D1D30018 04622F16
	v_mov_b32_e32 v25, 0xff7fffff                              // 0000000034C4: 7E3202FF FF7FFFFF
	v_cmp_eq_u32_e64 s[38:39], v25, v13                        // 0000000034CC: D0CA0026 00021B19
	v_max_f32_e32 v20, v24, v13                                // 0000000034D4: 16281B18
	v_sub_f32_e32 v17, v13, v20                                // 0000000034D8: 0422290D
	v_cndmask_b32_e64 v17, v17, 0, s[38:39]                    // 0000000034DC: D1000011 00990111
	v_mov_b32_e32 v13, v20                                     // 0000000034E4: 7E1A0314
	v_mul_f32_e32 v21, s5, v20                                 // 0000000034E8: 0A2A2805
	v_mul_f32_e32 v17, s5, v17                                 // 0000000034EC: 0A222205
	v_exp_f32_e32 v17, v17                                     // 0000000034F0: 7E224111
	v_fma_f32 v36, v36, s5, -v21                               // 0000000034F4: D1CB0024 84540B24
	v_fma_f32 v37, v37, s5, -v21                               // 0000000034FC: D1CB0025 84540B25
	v_fma_f32 v38, v38, s5, -v21                               // 000000003504: D1CB0026 84540B26
	v_fma_f32 v39, v39, s5, -v21                               // 00000000350C: D1CB0027 84540B27
	v_exp_f32_e32 v36, v36                                     // 000000003514: 7E484124
	v_exp_f32_e32 v37, v37                                     // 000000003518: 7E4A4125
	v_exp_f32_e32 v38, v38                                     // 00000000351C: 7E4C4126
	v_exp_f32_e32 v39, v39                                     // 000000003520: 7E4E4127
	v_mul_f32_e32 v15, v17, v15                                // 000000003524: 0A1E1F11
	v_mov_b32_e32 v22, v36                                     // 000000003528: 7E2C0324
	v_add_f32_e32 v22, v37, v22                                // 00000000352C: 022C2D25
	v_add_f32_e32 v22, v38, v22                                // 000000003530: 022C2D26
	v_add_f32_e32 v22, v39, v22                                // 000000003534: 022C2D27
	v_add_f32_e32 v15, v22, v15                                // 000000003538: 021E1F16
	v_mov_b32_e32 v29, 0xffff0000                              // 00000000353C: 7E3A02FF FFFF0000
	v_mov_b32_e32 v30, 0x7fff0000                              // 000000003544: 7E3C02FF 7FFF0000
	v_mov_b32_e32 v31, 0x7fff                                  // 00000000354C: 7E3E02FF 00007FFF
	v_cmp_u_f32_e64 s[38:39], v36, v36                         // 000000003554: D0480026 00024924
	v_add3_u32 v28, v36, v31, 1                                // 00000000355C: D1FF001C 02063F24
	v_cndmask_b32_e64 v20, v28, v30, s[38:39]                  // 000000003564: D1000014 009A3D1C
	v_cmp_u_f32_e64 s[38:39], v37, v37                         // 00000000356C: D0480026 00024B25
	v_add3_u32 v28, v37, v31, 1                                // 000000003574: D1FF001C 02063F25
	v_cndmask_b32_e64 v21, v28, v30, s[38:39]                  // 00000000357C: D1000015 009A3D1C
	v_perm_b32 v36, v21, v20, s52                              // 000000003584: D1ED0024 00D22915
	v_cmp_u_f32_e64 s[38:39], v38, v38                         // 00000000358C: D0480026 00024D26
	v_add3_u32 v28, v38, v31, 1                                // 000000003594: D1FF001C 02063F26
	v_cndmask_b32_e64 v20, v28, v30, s[38:39]                  // 00000000359C: D1000014 009A3D1C
	v_cmp_u_f32_e64 s[38:39], v39, v39                         // 0000000035A4: D0480026 00024F27
	v_add3_u32 v28, v39, v31, 1                                // 0000000035AC: D1FF001C 02063F27
	v_cndmask_b32_e64 v21, v28, v30, s[38:39]                  // 0000000035B4: D1000015 009A3D1C
	v_perm_b32 v37, v21, v20, s52                              // 0000000035BC: D1ED0025 00D22915
	s_nop 2                                                    // 0000000035C4: BF800002
	v_mov_b32_e32 v22, v17                                     // 0000000035C8: 7E2C0311
	v_mov_b32_e32 v23, v17                                     // 0000000035CC: 7E2E0311
	v_pk_mul_f32 v[148:149], v[22:23], v[148:149]              // 0000000035D0: D3B14094 18032916
	v_pk_mul_f32 v[150:151], v[22:23], v[150:151]              // 0000000035D8: D3B14096 18032D16
	v_pk_mul_f32 v[152:153], v[22:23], v[152:153]              // 0000000035E0: D3B14098 18033116
	v_pk_mul_f32 v[154:155], v[22:23], v[154:155]              // 0000000035E8: D3B1409A 18033516
	v_pk_mul_f32 v[156:157], v[22:23], v[156:157]              // 0000000035F0: D3B1409C 18033916
	v_pk_mul_f32 v[158:159], v[22:23], v[158:159]              // 0000000035F8: D3B1409E 18033D16
	v_pk_mul_f32 v[160:161], v[22:23], v[160:161]              // 000000003600: D3B140A0 18034116
	v_pk_mul_f32 v[162:163], v[22:23], v[162:163]              // 000000003608: D3B140A2 18034516
	v_pk_mul_f32 v[164:165], v[22:23], v[164:165]              // 000000003610: D3B140A4 18034916
	v_pk_mul_f32 v[166:167], v[22:23], v[166:167]              // 000000003618: D3B140A6 18034D16
	v_pk_mul_f32 v[168:169], v[22:23], v[168:169]              // 000000003620: D3B140A8 18035116
	v_pk_mul_f32 v[170:171], v[22:23], v[170:171]              // 000000003628: D3B140AA 18035516
	v_pk_mul_f32 v[172:173], v[22:23], v[172:173]              // 000000003630: D3B140AC 18035916
	v_pk_mul_f32 v[174:175], v[22:23], v[174:175]              // 000000003638: D3B140AE 18035D16
	v_pk_mul_f32 v[176:177], v[22:23], v[176:177]              // 000000003640: D3B140B0 18036116
	v_pk_mul_f32 v[178:179], v[22:23], v[178:179]              // 000000003648: D3B140B2 18036516
	v_pk_mul_f32 v[180:181], v[22:23], v[180:181]              // 000000003650: D3B140B4 18036916
	v_pk_mul_f32 v[182:183], v[22:23], v[182:183]              // 000000003658: D3B140B6 18036D16
	v_pk_mul_f32 v[184:185], v[22:23], v[184:185]              // 000000003660: D3B140B8 18037116
	v_pk_mul_f32 v[186:187], v[22:23], v[186:187]              // 000000003668: D3B140BA 18037516
	v_pk_mul_f32 v[188:189], v[22:23], v[188:189]              // 000000003670: D3B140BC 18037916
	v_pk_mul_f32 v[190:191], v[22:23], v[190:191]              // 000000003678: D3B140BE 18037D16
	v_pk_mul_f32 v[192:193], v[22:23], v[192:193]              // 000000003680: D3B140C0 18038116
	v_pk_mul_f32 v[194:195], v[22:23], v[194:195]              // 000000003688: D3B140C2 18038516
	v_pk_mul_f32 v[196:197], v[22:23], v[196:197]              // 000000003690: D3B140C4 18038916
	v_pk_mul_f32 v[198:199], v[22:23], v[198:199]              // 000000003698: D3B140C6 18038D16
	v_pk_mul_f32 v[200:201], v[22:23], v[200:201]              // 0000000036A0: D3B140C8 18039116
	v_pk_mul_f32 v[202:203], v[22:23], v[202:203]              // 0000000036A8: D3B140CA 18039516
	v_pk_mul_f32 v[204:205], v[22:23], v[204:205]              // 0000000036B0: D3B140CC 18039916
	v_pk_mul_f32 v[206:207], v[22:23], v[206:207]              // 0000000036B8: D3B140CE 18039D16
	v_pk_mul_f32 v[208:209], v[22:23], v[208:209]              // 0000000036C0: D3B140D0 1803A116
	v_pk_mul_f32 v[210:211], v[22:23], v[210:211]              // 0000000036C8: D3B140D2 1803A516
	v_pk_mul_f32 v[212:213], v[22:23], v[212:213]              // 0000000036D0: D3B140D4 1803A916
	v_pk_mul_f32 v[214:215], v[22:23], v[214:215]              // 0000000036D8: D3B140D6 1803AD16
	v_pk_mul_f32 v[216:217], v[22:23], v[216:217]              // 0000000036E0: D3B140D8 1803B116
	v_pk_mul_f32 v[218:219], v[22:23], v[218:219]              // 0000000036E8: D3B140DA 1803B516
	v_pk_mul_f32 v[220:221], v[22:23], v[220:221]              // 0000000036F0: D3B140DC 1803B916
	v_pk_mul_f32 v[222:223], v[22:23], v[222:223]              // 0000000036F8: D3B140DE 1803BD16
	v_pk_mul_f32 v[224:225], v[22:23], v[224:225]              // 000000003700: D3B140E0 1803C116
	v_pk_mul_f32 v[226:227], v[22:23], v[226:227]              // 000000003708: D3B140E2 1803C516
	v_pk_mul_f32 v[228:229], v[22:23], v[228:229]              // 000000003710: D3B140E4 1803C916
	v_pk_mul_f32 v[230:231], v[22:23], v[230:231]              // 000000003718: D3B140E6 1803CD16
	v_pk_mul_f32 v[232:233], v[22:23], v[232:233]              // 000000003720: D3B140E8 1803D116
	v_pk_mul_f32 v[234:235], v[22:23], v[234:235]              // 000000003728: D3B140EA 1803D516
	v_pk_mul_f32 v[236:237], v[22:23], v[236:237]              // 000000003730: D3B140EC 1803D916
	v_pk_mul_f32 v[238:239], v[22:23], v[238:239]              // 000000003738: D3B140EE 1803DD16
	v_pk_mul_f32 v[240:241], v[22:23], v[240:241]              // 000000003740: D3B140F0 1803E116
	v_pk_mul_f32 v[242:243], v[22:23], v[242:243]              // 000000003748: D3B140F2 1803E516
	v_pk_mul_f32 v[244:245], v[22:23], v[244:245]              // 000000003750: D3B140F4 1803E916
	v_pk_mul_f32 v[246:247], v[22:23], v[246:247]              // 000000003758: D3B140F6 1803ED16
	v_pk_mul_f32 v[248:249], v[22:23], v[248:249]              // 000000003760: D3B140F8 1803F116
	v_pk_mul_f32 v[250:251], v[22:23], v[250:251]              // 000000003768: D3B140FA 1803F516
	v_pk_mul_f32 v[252:253], v[22:23], v[252:253]              // 000000003770: D3B140FC 1803F916
	v_pk_mul_f32 v[254:255], v[22:23], v[254:255]              // 000000003778: D3B140FE 1803FD16
	v_accvgpr_read_b32 v20, a236                               // 000000003780: D3D84014 180001EC
	v_accvgpr_read_b32 v21, a237                               // 000000003788: D3D84015 180001ED
	v_pk_mul_f32 v[20:21], v[22:23], v[20:21]                  // 000000003790: D3B14014 18022916
	v_accvgpr_write_b32 a236, v20                              // 000000003798: D3D940EC 18000114
	v_accvgpr_write_b32 a237, v21                              // 0000000037A0: D3D940ED 18000115
	v_accvgpr_read_b32 v20, a238                               // 0000000037A8: D3D84014 180001EE
	v_accvgpr_read_b32 v21, a239                               // 0000000037B0: D3D84015 180001EF
	v_pk_mul_f32 v[20:21], v[22:23], v[20:21]                  // 0000000037B8: D3B14014 18022916
	v_accvgpr_write_b32 a238, v20                              // 0000000037C0: D3D940EE 18000114
	v_accvgpr_write_b32 a239, v21                              // 0000000037C8: D3D940EF 18000115
	v_accvgpr_read_b32 v20, a240                               // 0000000037D0: D3D84014 180001F0
	v_accvgpr_read_b32 v21, a241                               // 0000000037D8: D3D84015 180001F1
	v_pk_mul_f32 v[20:21], v[22:23], v[20:21]                  // 0000000037E0: D3B14014 18022916
	v_accvgpr_write_b32 a240, v20                              // 0000000037E8: D3D940F0 18000114
	v_accvgpr_write_b32 a241, v21                              // 0000000037F0: D3D940F1 18000115
	v_accvgpr_read_b32 v20, a242                               // 0000000037F8: D3D84014 180001F2
	v_accvgpr_read_b32 v21, a243                               // 000000003800: D3D84015 180001F3
	v_pk_mul_f32 v[20:21], v[22:23], v[20:21]                  // 000000003808: D3B14014 18022916
	v_accvgpr_write_b32 a242, v20                              // 000000003810: D3D940F2 18000114
	v_accvgpr_write_b32 a243, v21                              // 000000003818: D3D940F3 18000115
	v_accvgpr_read_b32 v20, a244                               // 000000003820: D3D84014 180001F4
	v_accvgpr_read_b32 v21, a245                               // 000000003828: D3D84015 180001F5
	v_pk_mul_f32 v[20:21], v[22:23], v[20:21]                  // 000000003830: D3B14014 18022916
	v_accvgpr_write_b32 a244, v20                              // 000000003838: D3D940F4 18000114
	v_accvgpr_write_b32 a245, v21                              // 000000003840: D3D940F5 18000115
	v_accvgpr_read_b32 v20, a246                               // 000000003848: D3D84014 180001F6
	v_accvgpr_read_b32 v21, a247                               // 000000003850: D3D84015 180001F7
	v_pk_mul_f32 v[20:21], v[22:23], v[20:21]                  // 000000003858: D3B14014 18022916
	v_accvgpr_write_b32 a246, v20                              // 000000003860: D3D940F6 18000114
	v_accvgpr_write_b32 a247, v21                              // 000000003868: D3D940F7 18000115
	v_accvgpr_read_b32 v20, a248                               // 000000003870: D3D84014 180001F8
	v_accvgpr_read_b32 v21, a249                               // 000000003878: D3D84015 180001F9
	v_pk_mul_f32 v[20:21], v[22:23], v[20:21]                  // 000000003880: D3B14014 18022916
	v_accvgpr_write_b32 a248, v20                              // 000000003888: D3D940F8 18000114
	v_accvgpr_write_b32 a249, v21                              // 000000003890: D3D940F9 18000115
	v_accvgpr_read_b32 v20, a250                               // 000000003898: D3D84014 180001FA
	v_accvgpr_read_b32 v21, a251                               // 0000000038A0: D3D84015 180001FB
	v_pk_mul_f32 v[20:21], v[22:23], v[20:21]                  // 0000000038A8: D3B14014 18022916
	v_accvgpr_write_b32 a250, v20                              // 0000000038B0: D3D940FA 18000114
	v_accvgpr_write_b32 a251, v21                              // 0000000038B8: D3D940FB 18000115
	v_accvgpr_read_b32 v20, a252                               // 0000000038C0: D3D84014 180001FC
	v_accvgpr_read_b32 v21, a253                               // 0000000038C8: D3D84015 180001FD
	v_pk_mul_f32 v[20:21], v[22:23], v[20:21]                  // 0000000038D0: D3B14014 18022916
	v_accvgpr_write_b32 a252, v20                              // 0000000038D8: D3D940FC 18000114
	v_accvgpr_write_b32 a253, v21                              // 0000000038E0: D3D940FD 18000115
	v_accvgpr_read_b32 v20, a254                               // 0000000038E8: D3D84014 180001FE
	v_accvgpr_read_b32 v21, a255                               // 0000000038F0: D3D84015 180001FF
	v_pk_mul_f32 v[20:21], v[22:23], v[20:21]                  // 0000000038F8: D3B14014 18022916
	v_accvgpr_write_b32 a254, v20                              // 000000003900: D3D940FE 18000114
	v_accvgpr_write_b32 a255, v21                              // 000000003908: D3D940FF 18000115
	s_waitcnt vmcnt(18) lgkmcnt(0)                             // 000000003910: BF8C4072
	s_barrier                                                  // 000000003914: BF8A0000
	v_mfma_f32_16x16x16_bf16 v[148:151], a[144:145], v[36:37], v[148:151]// 000000003918: D3E10094 0E524990
	v_mfma_f32_16x16x16_bf16 v[152:155], a[146:147], v[36:37], v[152:155]// 000000003920: D3E10098 0E624992
	ds_read_b64 v[20:21], v5 offset:18560                      // 000000003928: D8EC4880 14000005
	ds_read_b64 v[22:23], v5 offset:23200                      // 000000003930: D8EC5AA0 16000005
	ds_read_b64 v[24:25], v5 offset:27840                      // 000000003938: D8EC6CC0 18000005
	ds_read_b64 v[26:27], v5 offset:32480                      // 000000003940: D8EC7EE0 1A000005
	v_mfma_f32_16x16x16_bf16 v[156:159], a[148:149], v[36:37], v[156:159]// 000000003948: D3E1009C 0E724994
	v_mfma_f32_16x16x16_bf16 v[160:163], a[150:151], v[36:37], v[160:163]// 000000003950: D3E100A0 0E824996
	v_mfma_f32_16x16x16_bf16 v[164:167], a[152:153], v[36:37], v[164:167]// 000000003958: D3E100A4 0E924998
	v_mfma_f32_16x16x16_bf16 v[168:171], a[154:155], v[36:37], v[168:171]// 000000003960: D3E100A8 0EA2499A
	ds_read_b128 a[144:147], v4 offset:18560                   // 000000003968: DBFE4880 90000004
	ds_read_b128 a[148:151], v4 offset:18624                   // 000000003970: DBFE48C0 94000004
	v_mfma_f32_16x16x16_bf16 v[172:175], a[156:157], v[36:37], v[172:175]// 000000003978: D3E100AC 0EB2499C
	v_mfma_f32_16x16x16_bf16 v[176:179], a[158:159], v[36:37], v[176:179]// 000000003980: D3E100B0 0EC2499E
	s_waitcnt lgkmcnt(2)                                       // 000000003988: BF8CC27F
	v_perm_b32 v28, v22, v20, s53                              // 00000000398C: D1ED001C 00D62916
	v_perm_b32 v30, v22, v20, s52                              // 000000003994: D1ED001E 00D22916
	v_perm_b32 v29, v26, v24, s53                              // 00000000399C: D1ED001D 00D6311A
	v_perm_b32 v31, v26, v24, s52                              // 0000000039A4: D1ED001F 00D2311A
	v_mfma_f32_16x16x16_bf16 v[180:183], a[160:161], v[36:37], v[180:183]// 0000000039AC: D3E100B4 0ED249A0
	v_mfma_f32_16x16x16_bf16 v[184:187], a[162:163], v[36:37], v[184:187]// 0000000039B4: D3E100B8 0EE249A2
	ds_write_b128 v6, v[28:31] offset:37120                    // 0000000039BC: D9BE9100 00001C06
	v_mfma_f32_16x16x16_bf16 v[188:191], a[164:165], v[36:37], v[188:191]// 0000000039C4: D3E100BC 0EF249A4
	v_mfma_f32_16x16x16_bf16 v[192:195], a[166:167], v[36:37], v[192:195]// 0000000039CC: D3E100C0 0F0249A6
	v_perm_b32 v28, v23, v21, s53                              // 0000000039D4: D1ED001C 00D62B17
	v_perm_b32 v30, v23, v21, s52                              // 0000000039DC: D1ED001E 00D22B17
	v_perm_b32 v29, v27, v25, s53                              // 0000000039E4: D1ED001D 00D6331B
	v_perm_b32 v31, v27, v25, s52                              // 0000000039EC: D1ED001F 00D2331B
	v_mfma_f32_16x16x16_bf16 v[196:199], a[168:169], v[36:37], v[196:199]// 0000000039F4: D3E100C4 0F1249A8
	v_mfma_f32_16x16x16_bf16 v[200:203], a[170:171], v[36:37], v[200:203]// 0000000039FC: D3E100C8 0F2249AA
	ds_write_b128 v6, v[28:31] offset:38144                    // 000000003A04: D9BE9500 00001C06
	v_mfma_f32_16x16x16_bf16 v[204:207], a[172:173], v[36:37], v[204:207]// 000000003A0C: D3E100CC 0F3249AC
	v_mfma_f32_16x16x16_bf16 v[208:211], a[174:175], v[36:37], v[208:211]// 000000003A14: D3E100D0 0F4249AE
	v_mfma_f32_16x16x16_bf16 v[212:215], a[176:177], v[36:37], v[212:215]// 000000003A1C: D3E100D4 0F5249B0
	v_mfma_f32_16x16x16_bf16 v[216:219], a[178:179], v[36:37], v[216:219]// 000000003A24: D3E100D8 0F6249B2
	ds_read_b64 v[20:21], v5 offset:19584                      // 000000003A2C: D8EC4C80 14000005
	ds_read_b64 v[22:23], v5 offset:24224                      // 000000003A34: D8EC5EA0 16000005
	v_mfma_f32_16x16x16_bf16 v[220:223], a[180:181], v[36:37], v[220:223]// 000000003A3C: D3E100DC 0F7249B4
	v_mfma_f32_16x16x16_bf16 v[224:227], a[182:183], v[36:37], v[224:227]// 000000003A44: D3E100E0 0F8249B6
	ds_read_b64 v[24:25], v5 offset:28864                      // 000000003A4C: D8EC70C0 18000005
	ds_read_b64 v[26:27], v5 offset:33504                      // 000000003A54: D8EC82E0 1A000005
	v_mfma_f32_16x16x16_bf16 v[228:231], a[184:185], v[36:37], v[228:231]// 000000003A5C: D3E100E4 0F9249B8
	v_mfma_f32_16x16x16_bf16 v[232:235], a[186:187], v[36:37], v[232:235]// 000000003A64: D3E100E8 0FA249BA
	ds_read_b128 a[152:155], v4 offset:18816                   // 000000003A6C: DBFE4980 98000004
	ds_read_b128 a[156:159], v4 offset:18880                   // 000000003A74: DBFE49C0 9C000004
	v_mfma_f32_16x16x16_bf16 v[236:239], a[188:189], v[36:37], v[236:239]// 000000003A7C: D3E100EC 0FB249BC
	v_mfma_f32_16x16x16_bf16 v[240:243], a[190:191], v[36:37], v[240:243]// 000000003A84: D3E100F0 0FC249BE
	v_mfma_f32_16x16x16_bf16 v[244:247], a[192:193], v[36:37], v[244:247]// 000000003A8C: D3E100F4 0FD249C0
	v_mfma_f32_16x16x16_bf16 v[248:251], a[194:195], v[36:37], v[248:251]// 000000003A94: D3E100F8 0FE249C2
	ds_read_b128 a[160:163], v4 offset:19072                   // 000000003A9C: DBFE4A80 A0000004
	ds_read_b128 a[164:167], v4 offset:19136                   // 000000003AA4: DBFE4AC0 A4000004
	v_mfma_f32_16x16x16_bf16 v[252:255], a[196:197], v[36:37], v[252:255]// 000000003AAC: D3E100FC 0FF249C4
	v_mfma_f32_16x16x16_bf16 a[236:239], a[198:199], v[36:37], a[236:239]// 000000003AB4: D3E180EC 0FB249C6
	v_mfma_f32_16x16x16_bf16 a[240:243], a[200:201], v[36:37], a[240:243]// 000000003ABC: D3E180F0 0FC249C8
	v_mfma_f32_16x16x16_bf16 a[244:247], a[202:203], v[36:37], a[244:247]// 000000003AC4: D3E180F4 0FD249CA
	ds_read_b128 a[168:171], v4 offset:19328                   // 000000003ACC: DBFE4B80 A8000004
	ds_read_b128 a[172:175], v4 offset:19392                   // 000000003AD4: DBFE4BC0 AC000004
	v_mfma_f32_16x16x16_bf16 a[248:251], a[204:205], v[36:37], a[248:251]// 000000003ADC: D3E180F8 0FE249CC
	v_mfma_f32_16x16x16_bf16 a[252:255], a[206:207], v[36:37], a[252:255]// 000000003AE4: D3E180FC 0FF249CE
	s_nop 0                                                    // 000000003AEC: BF800000
	s_addk_i32 s70, 0x1                                        // 000000003AF0: B7460001
	s_cmp_lt_i32 s70, s71                                      // 000000003AF4: BF044746
	s_cbranch_scc0 label_0EFC                                  // 000000003AF8: BF84043D
	s_waitcnt lgkmcnt(4)                                       // 000000003AFC: BF8CC47F
	v_mfma_f32_16x16x16_bf16 v[32:35], a[144:145], a[0:1], 0   // 000000003B00: D3E10020 1A020190
	ds_read_b128 a[176:179], v4 offset:19584                   // 000000003B08: DBFE4C80 B0000004
	ds_read_b128 a[180:183], v4 offset:19648                   // 000000003B10: DBFE4CC0 B4000004
	v_mfma_f32_16x16x16_bf16 v[32:35], a[146:147], a[2:3], v[32:35]// 000000003B18: D3E10020 1C820592
	buffer_load_dword v11, v8, s[24:27], 0 offen               // 000000003B20: E0501000 80060B08
	v_mfma_f32_16x16x16_bf16 v[32:35], a[148:149], a[4:5], v[32:35]// 000000003B28: D3E10020 1C820994
	v_mfma_f32_16x16x16_bf16 v[32:35], a[150:151], a[6:7], v[32:35]// 000000003B30: D3E10020 1C820D96
	v_mfma_f32_16x16x16_bf16 v[32:35], a[152:153], a[8:9], v[32:35]// 000000003B38: D3E10020 1C821198
	ds_read_b128 a[184:187], v4 offset:19840                   // 000000003B40: DBFE4D80 B8000004
	ds_read_b128 a[188:191], v4 offset:19904                   // 000000003B48: DBFE4DC0 BC000004
	v_mfma_f32_16x16x16_bf16 v[32:35], a[154:155], a[10:11], v[32:35]// 000000003B50: D3E10020 1C82159A
	v_mfma_f32_16x16x16_bf16 v[32:35], a[156:157], a[12:13], v[32:35]// 000000003B58: D3E10020 1C82199C
	v_mfma_f32_16x16x16_bf16 v[32:35], a[158:159], a[14:15], v[32:35]// 000000003B60: D3E10020 1C821D9E
	s_waitcnt lgkmcnt(4)                                       // 000000003B68: BF8CC47F
	v_mfma_f32_16x16x16_bf16 v[32:35], a[160:161], a[16:17], v[32:35]// 000000003B6C: D3E10020 1C8221A0
	ds_read_b128 a[192:195], v4 offset:20096                   // 000000003B74: DBFE4E80 C0000004
	ds_read_b128 a[196:199], v4 offset:20160                   // 000000003B7C: DBFE4EC0 C4000004
	v_mfma_f32_16x16x16_bf16 v[32:35], a[162:163], a[18:19], v[32:35]// 000000003B84: D3E10020 1C8225A2
	v_mfma_f32_16x16x16_bf16 v[32:35], a[164:165], a[20:21], v[32:35]// 000000003B8C: D3E10020 1C8229A4
	v_mfma_f32_16x16x16_bf16 v[32:35], a[166:167], a[22:23], v[32:35]// 000000003B94: D3E10020 1C822DA6
	v_mfma_f32_16x16x16_bf16 v[32:35], a[168:169], a[24:25], v[32:35]// 000000003B9C: D3E10020 1C8231A8
	ds_read_b128 a[200:203], v4 offset:20352                   // 000000003BA4: DBFE4F80 C8000004
	ds_read_b128 a[204:207], v4 offset:20416                   // 000000003BAC: DBFE4FC0 CC000004
	v_mfma_f32_16x16x16_bf16 v[32:35], a[170:171], a[26:27], v[32:35]// 000000003BB4: D3E10020 1C8235AA
	v_mfma_f32_16x16x16_bf16 v[32:35], a[172:173], a[28:29], v[32:35]// 000000003BBC: D3E10020 1C8239AC
	v_mfma_f32_16x16x16_bf16 v[32:35], a[174:175], a[30:31], v[32:35]// 000000003BC4: D3E10020 1C823DAE
	s_waitcnt lgkmcnt(4)                                       // 000000003BCC: BF8CC47F
	s_barrier                                                  // 000000003BD0: BF8A0000
	v_mfma_f32_16x16x16_bf16 v[32:35], a[176:177], a[32:33], v[32:35]// 000000003BD4: D3E10020 1C8241B0
	ds_read_b128 a[208:211], v4 offset:20608                   // 000000003BDC: DBFE5080 D0000004
	ds_read_b128 a[212:215], v4 offset:20672                   // 000000003BE4: DBFE50C0 D4000004
	v_mfma_f32_16x16x16_bf16 v[32:35], a[178:179], a[34:35], v[32:35]// 000000003BEC: D3E10020 1C8245B2
	v_mfma_f32_16x16x16_bf16 v[32:35], a[180:181], a[36:37], v[32:35]// 000000003BF4: D3E10020 1C8249B4
	v_perm_b32 v28, v22, v20, s53                              // 000000003BFC: D1ED001C 00D62916
	v_perm_b32 v30, v22, v20, s52                              // 000000003C04: D1ED001E 00D22916
	v_perm_b32 v29, v26, v24, s53                              // 000000003C0C: D1ED001D 00D6311A
	v_perm_b32 v31, v26, v24, s52                              // 000000003C14: D1ED001F 00D2311A
	v_mfma_f32_16x16x16_bf16 v[32:35], a[182:183], a[38:39], v[32:35]// 000000003C1C: D3E10020 1C824DB6
	buffer_load_dword v18, s[20:23], 0 offen lds               // 000000003C24: E0511000 80050012
	s_add_u32 m0, 0, s37                                       // 000000003C2C: 807C2580
	v_mfma_f32_16x16x16_bf16 v[32:35], a[184:185], a[40:41], v[32:35]// 000000003C30: D3E10020 1C8251B8
	ds_write_b128 v6, v[28:31] offset:45312                    // 000000003C38: D9BEB100 00001C06
	v_mfma_f32_16x16x16_bf16 v[32:35], a[186:187], a[42:43], v[32:35]// 000000003C40: D3E10020 1C8255BA
	buffer_load_dword v19, s[20:23], 0 offen lds               // 000000003C48: E0511000 80050013
	s_add_u32 m0, 0x80, s36                                    // 000000003C50: 807C24FF 00000080
	v_mfma_f32_16x16x16_bf16 v[32:35], a[188:189], a[44:45], v[32:35]// 000000003C58: D3E10020 1C8259BC
	v_perm_b32 v28, v23, v21, s53                              // 000000003C60: D1ED001C 00D62B17
	v_perm_b32 v30, v23, v21, s52                              // 000000003C68: D1ED001E 00D22B17
	v_perm_b32 v29, v27, v25, s53                              // 000000003C70: D1ED001D 00D6331B
	v_perm_b32 v31, v27, v25, s52                              // 000000003C78: D1ED001F 00D2331B
	v_mfma_f32_16x16x16_bf16 v[32:35], a[190:191], a[46:47], v[32:35]// 000000003C80: D3E10020 1C825DBE
	buffer_load_dword v18, s[20:23], 0 offen offset:128 lds    // 000000003C88: E0511080 80050012
	s_add_u32 m0, 0x80, s37                                    // 000000003C90: 807C25FF 00000080
	s_waitcnt lgkmcnt(1)                                       // 000000003C98: BF8CC17F
	v_mfma_f32_16x16x16_bf16 v[32:35], a[192:193], a[48:49], v[32:35]// 000000003C9C: D3E10020 1C8261C0
	ds_write_b128 v6, v[28:31] offset:46336                    // 000000003CA4: D9BEB500 00001C06
	v_mfma_f32_16x16x16_bf16 v[32:35], a[194:195], a[50:51], v[32:35]// 000000003CAC: D3E10020 1C8265C2
	buffer_load_dword v19, s[20:23], 0 offen offset:128 lds    // 000000003CB4: E0511080 80050013
	s_add_u32 m0, 0x100, s36                                   // 000000003CBC: 807C24FF 00000100
	v_mfma_f32_16x16x16_bf16 v[32:35], a[196:197], a[52:53], v[32:35]// 000000003CC4: D3E10020 1C8269C4
	v_mfma_f32_16x16x16_bf16 v[32:35], a[198:199], a[54:55], v[32:35]// 000000003CCC: D3E10020 1C826DC6
	buffer_load_dword v18, s[20:23], 0 offen offset:256 lds    // 000000003CD4: E0511100 80050012
	s_add_u32 m0, 0x100, s37                                   // 000000003CDC: 807C25FF 00000100
	v_mfma_f32_16x16x16_bf16 v[32:35], a[200:201], a[56:57], v[32:35]// 000000003CE4: D3E10020 1C8271C8
	v_mfma_f32_16x16x16_bf16 v[32:35], a[202:203], a[58:59], v[32:35]// 000000003CEC: D3E10020 1C8275CA
	buffer_load_dword v19, s[20:23], 0 offen offset:256 lds    // 000000003CF4: E0511100 80050013
	s_add_u32 m0, 0x180, s36                                   // 000000003CFC: 807C24FF 00000180
	v_mfma_f32_16x16x16_bf16 v[32:35], a[204:205], a[60:61], v[32:35]// 000000003D04: D3E10020 1C8279CC
	v_mfma_f32_16x16x16_bf16 v[32:35], a[206:207], a[62:63], v[32:35]// 000000003D0C: D3E10020 1C827DCE
	buffer_load_dword v18, s[20:23], 0 offen offset:384 lds    // 000000003D14: E0511180 80050012
	s_add_u32 m0, 0x180, s37                                   // 000000003D1C: 807C25FF 00000180
	v_mfma_f32_16x16x16_bf16 v[32:35], a[208:209], a[64:65], v[32:35]// 000000003D24: D3E10020 1C8281D0
	v_mfma_f32_16x16x16_bf16 v[32:35], a[210:211], a[66:67], v[32:35]// 000000003D2C: D3E10020 1C8285D2
	buffer_load_dword v19, s[20:23], 0 offen offset:384 lds    // 000000003D34: E0511180 80050013
	s_add_u32 m0, 0x200, s36                                   // 000000003D3C: 807C24FF 00000200
	v_mfma_f32_16x16x16_bf16 v[32:35], a[212:213], a[68:69], v[32:35]// 000000003D44: D3E10020 1C8289D4
	v_mfma_f32_16x16x16_bf16 v[32:35], a[214:215], a[70:71], v[32:35]// 000000003D4C: D3E10020 1C828DD6
	buffer_load_dword v18, s[20:23], 0 offen offset:512 lds    // 000000003D54: E0511200 80050012
	s_add_u32 m0, 0x200, s37                                   // 000000003D5C: 807C25FF 00000200
	v_add_u32_e32 v8, s73, v8                                  // 000000003D64: 68101049
	s_waitcnt lgkmcnt(0)                                       // 000000003D68: BF8CC07F
	s_barrier                                                  // 000000003D6C: BF8A0000
	v_mfma_f32_16x16x16_bf16 v[36:39], a[144:145], a[72:73], 0 // 000000003D70: D3E10024 1A029190
	v_mfma_f32_16x16x16_bf16 v[36:39], a[146:147], a[74:75], v[36:39]// 000000003D78: D3E10024 1C929592
	v_max3_f32 v24, v32, v33, v32                              // 000000003D80: D1D30018 04824320
	v_max3_f32 v24, v34, v35, v24                              // 000000003D88: D1D30018 04624722
	ds_write_b32 v3, v24 offset:53504                          // 000000003D90: D81AD100 00001803
	v_mfma_f32_16x16x16_bf16 v[36:39], a[148:149], a[76:77], v[36:39]// 000000003D98: D3E10024 1C929994
	v_mfma_f32_16x16x16_bf16 v[36:39], a[150:151], a[78:79], v[36:39]// 000000003DA0: D3E10024 1C929D96
	buffer_load_dword v19, s[20:23], 0 offen offset:512 lds    // 000000003DA8: E0511200 80050013
	s_add_u32 m0, 0x280, s36                                   // 000000003DB0: 807C24FF 00000280
	v_mfma_f32_16x16x16_bf16 v[36:39], a[152:153], a[80:81], v[36:39]// 000000003DB8: D3E10024 1C92A198
	v_mfma_f32_16x16x16_bf16 v[36:39], a[154:155], a[82:83], v[36:39]// 000000003DC0: D3E10024 1C92A59A
	buffer_load_dword v18, s[20:23], 0 offen offset:640 lds    // 000000003DC8: E0511280 80050012
	s_add_u32 m0, 0x280, s37                                   // 000000003DD0: 807C25FF 00000280
	v_mfma_f32_16x16x16_bf16 v[36:39], a[156:157], a[84:85], v[36:39]// 000000003DD8: D3E10024 1C92A99C
	s_waitcnt lgkmcnt(0)                                       // 000000003DE0: BF8CC07F
	ds_read_b32 v20, v2 offset:53504                           // 000000003DE4: D86CD100 14000002
	ds_read_b32 v21, v2 offset:53568                           // 000000003DEC: D86CD140 15000002
	v_mfma_f32_16x16x16_bf16 v[36:39], a[158:159], a[86:87], v[36:39]// 000000003DF4: D3E10024 1C92AD9E
	ds_read_b32 v22, v2 offset:53632                           // 000000003DFC: D86CD180 16000002
	ds_read_b32 v23, v2 offset:53696                           // 000000003E04: D86CD1C0 17000002
	v_mfma_f32_16x16x16_bf16 v[36:39], a[160:161], a[88:89], v[36:39]// 000000003E0C: D3E10024 1C92B1A0
	v_mfma_f32_16x16x16_bf16 v[36:39], a[162:163], a[90:91], v[36:39]// 000000003E14: D3E10024 1C92B5A2
	buffer_load_dword v19, s[20:23], 0 offen offset:640 lds    // 000000003E1C: E0511280 80050013
	s_add_u32 m0, 0x300, s36                                   // 000000003E24: 807C24FF 00000300
	v_mfma_f32_16x16x16_bf16 v[36:39], a[164:165], a[92:93], v[36:39]// 000000003E2C: D3E10024 1C92B9A4
	v_mfma_f32_16x16x16_bf16 v[36:39], a[166:167], a[94:95], v[36:39]// 000000003E34: D3E10024 1C92BDA6
	buffer_load_dword v18, s[20:23], 0 offen offset:768 lds    // 000000003E3C: E0511300 80050012
	s_add_u32 m0, 0x300, s37                                   // 000000003E44: 807C25FF 00000300
	v_mfma_f32_16x16x16_bf16 v[36:39], a[168:169], a[96:97], v[36:39]// 000000003E4C: D3E10024 1C92C1A8
	v_mfma_f32_16x16x16_bf16 v[36:39], a[170:171], a[98:99], v[36:39]// 000000003E54: D3E10024 1C92C5AA
	buffer_load_dword v19, s[20:23], 0 offen offset:768 lds    // 000000003E5C: E0511300 80050013
	s_add_u32 m0, 0x380, s36                                   // 000000003E64: 807C24FF 00000380
	v_mfma_f32_16x16x16_bf16 v[36:39], a[172:173], a[100:101], v[36:39]// 000000003E6C: D3E10024 1C92C9AC
	s_waitcnt lgkmcnt(0)                                       // 000000003E74: BF8CC07F
	v_max3_f32 v24, v20, v21, v24                              // 000000003E78: D1D30018 04622B14
	v_max3_f32 v24, v22, v23, v24                              // 000000003E80: D1D30018 04622F16
	v_mfma_f32_16x16x16_bf16 v[36:39], a[174:175], a[102:103], v[36:39]// 000000003E88: D3E10024 1C92CDAE
	v_mfma_f32_16x16x16_bf16 v[36:39], a[176:177], a[104:105], v[36:39]// 000000003E90: D3E10024 1C92D1B0
	v_mfma_f32_16x16x16_bf16 v[36:39], a[178:179], a[106:107], v[36:39]// 000000003E98: D3E10024 1C92D5B2
	buffer_load_dword v18, s[20:23], 0 offen offset:896 lds    // 000000003EA0: E0511380 80050012
	s_add_u32 m0, 0x380, s37                                   // 000000003EA8: 807C25FF 00000380
	v_mfma_f32_16x16x16_bf16 v[36:39], a[180:181], a[108:109], v[36:39]// 000000003EB0: D3E10024 1C92D9B4
	v_mfma_f32_16x16x16_bf16 v[36:39], a[182:183], a[110:111], v[36:39]// 000000003EB8: D3E10024 1C92DDB6
	buffer_load_dword v19, s[20:23], 0 offen offset:896 lds    // 000000003EC0: E0511380 80050013
	s_add_u32 m0, 0x400, s36                                   // 000000003EC8: 807C24FF 00000400
	v_mfma_f32_16x16x16_bf16 v[36:39], a[184:185], a[112:113], v[36:39]// 000000003ED0: D3E10024 1C92E1B8
	ds_read_b128 a[144:147], v7 offset:37120                   // 000000003ED8: DBFE9100 90000007
	ds_read_b128 a[148:151], v7 offset:38144                   // 000000003EE0: DBFE9500 94000007
	v_mfma_f32_16x16x16_bf16 v[36:39], a[186:187], a[114:115], v[36:39]// 000000003EE8: D3E10024 1C92E5BA
	buffer_load_dword v18, s[20:23], 0 offen offset:1024 lds   // 000000003EF0: E0511400 80050012
	s_add_u32 m0, 0x400, s37                                   // 000000003EF8: 807C25FF 00000400
	v_mfma_f32_16x16x16_bf16 v[36:39], a[188:189], a[116:117], v[36:39]// 000000003F00: D3E10024 1C92E9BC
	v_mfma_f32_16x16x16_bf16 v[36:39], a[190:191], a[118:119], v[36:39]// 000000003F08: D3E10024 1C92EDBE
	v_mfma_f32_16x16x16_bf16 v[36:39], a[192:193], a[120:121], v[36:39]// 000000003F10: D3E10024 1C92F1C0
	ds_read_b128 a[152:155], v7 offset:39168                   // 000000003F18: DBFE9900 98000007
	ds_read_b128 a[156:159], v7 offset:40192                   // 000000003F20: DBFE9D00 9C000007
	v_mfma_f32_16x16x16_bf16 v[36:39], a[194:195], a[122:123], v[36:39]// 000000003F28: D3E10024 1C92F5C2
	buffer_load_dword v19, s[20:23], 0 offen offset:1024 lds   // 000000003F30: E0511400 80050013
	s_add_u32 m0, 0x480, s36                                   // 000000003F38: 807C24FF 00000480
	v_mfma_f32_16x16x16_bf16 v[36:39], a[196:197], a[124:125], v[36:39]// 000000003F40: D3E10024 1C92F9C4
	v_mfma_f32_16x16x16_bf16 v[36:39], a[198:199], a[126:127], v[36:39]// 000000003F48: D3E10024 1C92FDC6
	v_mfma_f32_16x16x16_bf16 v[36:39], a[200:201], a[128:129], v[36:39]// 000000003F50: D3E10024 1C9301C8
	ds_read_b128 a[160:163], v7 offset:41216                   // 000000003F58: DBFEA100 A0000007
	ds_read_b128 a[164:167], v7 offset:42240                   // 000000003F60: DBFEA500 A4000007
	v_mfma_f32_16x16x16_bf16 v[36:39], a[202:203], a[130:131], v[36:39]// 000000003F68: D3E10024 1C9305CA
	v_mfma_f32_16x16x16_bf16 v[36:39], a[204:205], a[132:133], v[36:39]// 000000003F70: D3E10024 1C9309CC
	v_mfma_f32_16x16x16_bf16 v[36:39], a[206:207], a[134:135], v[36:39]// 000000003F78: D3E10024 1C930DCE
	v_mfma_f32_16x16x16_bf16 v[36:39], a[208:209], a[136:137], v[36:39]// 000000003F80: D3E10024 1C9311D0
	ds_read_b128 a[168:171], v7 offset:43264                   // 000000003F88: DBFEA900 A8000007
	ds_read_b128 a[172:175], v7 offset:44288                   // 000000003F90: DBFEAD00 AC000007
	v_mfma_f32_16x16x16_bf16 v[36:39], a[210:211], a[138:139], v[36:39]// 000000003F98: D3E10024 1C9315D2
	v_mfma_f32_16x16x16_bf16 v[36:39], a[212:213], a[140:141], v[36:39]// 000000003FA0: D3E10024 1C9319D4
	v_mfma_f32_16x16x16_bf16 v[36:39], a[214:215], a[142:143], v[36:39]// 000000003FA8: D3E10024 1C931DD6
	v_mov_b32_e32 v25, 0xff7fffff                              // 000000003FB0: 7E3202FF FF7FFFFF
	v_cmp_eq_u32_e64 s[38:39], v25, v12                        // 000000003FB8: D0CA0026 00021919
	v_max_f32_e32 v20, v24, v12                                // 000000003FC0: 16281918
	v_sub_f32_e32 v16, v12, v20                                // 000000003FC4: 0420290C
	v_cndmask_b32_e64 v16, v16, 0, s[38:39]                    // 000000003FC8: D1000010 00990110
	v_mov_b32_e32 v12, v20                                     // 000000003FD0: 7E180314
	v_mul_f32_e32 v21, s5, v20                                 // 000000003FD4: 0A2A2805
	v_mul_f32_e32 v16, s5, v16                                 // 000000003FD8: 0A202005
	v_exp_f32_e32 v16, v16                                     // 000000003FDC: 7E204110
	v_fma_f32 v32, v32, s5, -v21                               // 000000003FE0: D1CB0020 84540B20
	v_fma_f32 v33, v33, s5, -v21                               // 000000003FE8: D1CB0021 84540B21
	v_fma_f32 v34, v34, s5, -v21                               // 000000003FF0: D1CB0022 84540B22
	v_fma_f32 v35, v35, s5, -v21                               // 000000003FF8: D1CB0023 84540B23
	v_exp_f32_e32 v32, v32                                     // 000000004000: 7E404120
	v_exp_f32_e32 v33, v33                                     // 000000004004: 7E424121
	v_exp_f32_e32 v34, v34                                     // 000000004008: 7E444122
	v_exp_f32_e32 v35, v35                                     // 00000000400C: 7E464123
	v_mul_f32_e32 v14, v16, v14                                // 000000004010: 0A1C1D10
	v_mov_b32_e32 v22, v32                                     // 000000004014: 7E2C0320
	v_add_f32_e32 v22, v33, v22                                // 000000004018: 022C2D21
	v_add_f32_e32 v22, v34, v22                                // 00000000401C: 022C2D22
	v_add_f32_e32 v22, v35, v22                                // 000000004020: 022C2D23
	v_add_f32_e32 v14, v22, v14                                // 000000004024: 021C1D16
	v_mov_b32_e32 v29, 0xffff0000                              // 000000004028: 7E3A02FF FFFF0000
	v_mov_b32_e32 v30, 0x7fff0000                              // 000000004030: 7E3C02FF 7FFF0000
	v_mov_b32_e32 v31, 0x7fff                                  // 000000004038: 7E3E02FF 00007FFF
	v_cmp_u_f32_e64 s[38:39], v32, v32                         // 000000004040: D0480026 00024120
	v_add3_u32 v28, v32, v31, 1                                // 000000004048: D1FF001C 02063F20
	v_cndmask_b32_e64 v20, v28, v30, s[38:39]                  // 000000004050: D1000014 009A3D1C
	v_cmp_u_f32_e64 s[38:39], v33, v33                         // 000000004058: D0480026 00024321
	v_add3_u32 v28, v33, v31, 1                                // 000000004060: D1FF001C 02063F21
	v_cndmask_b32_e64 v21, v28, v30, s[38:39]                  // 000000004068: D1000015 009A3D1C
	v_perm_b32 v32, v21, v20, s52                              // 000000004070: D1ED0020 00D22915
	v_cmp_u_f32_e64 s[38:39], v34, v34                         // 000000004078: D0480026 00024522
	v_add3_u32 v28, v34, v31, 1                                // 000000004080: D1FF001C 02063F22
	v_cndmask_b32_e64 v20, v28, v30, s[38:39]                  // 000000004088: D1000014 009A3D1C
	v_cmp_u_f32_e64 s[38:39], v35, v35                         // 000000004090: D0480026 00024723
	v_add3_u32 v28, v35, v31, 1                                // 000000004098: D1FF001C 02063F23
	v_cndmask_b32_e64 v21, v28, v30, s[38:39]                  // 0000000040A0: D1000015 009A3D1C
	v_perm_b32 v33, v21, v20, s52                              // 0000000040A8: D1ED0021 00D22915
	s_nop 2                                                    // 0000000040B0: BF800002
	v_mul_u32_u24_dpp v18, v10, v9 row_newbcast:0 row_mask:0xf bank_mask:0xf// 0000000040B4: 102412FA FF01500A
	v_mul_u32_u24_dpp v19, v10, v9 row_newbcast:8 row_mask:0xf bank_mask:0xf// 0000000040BC: 102612FA FF01580A
	v_add_u32_e32 v18, v18, v1                                 // 0000000040C4: 68240312
	v_add_u32_e32 v19, v19, v1                                 // 0000000040C8: 68260313
	s_mov_b32 m0, s34                                          // 0000000040CC: BEFC0022
	v_mov_b32_e32 v22, v16                                     // 0000000040D0: 7E2C0310
	v_mov_b32_e32 v23, v16                                     // 0000000040D4: 7E2E0310
	v_pk_mul_f32 v[40:41], v[22:23], v[40:41]                  // 0000000040D8: D3B14028 18025116
	v_pk_mul_f32 v[42:43], v[22:23], v[42:43]                  // 0000000040E0: D3B1402A 18025516
	v_pk_mul_f32 v[44:45], v[22:23], v[44:45]                  // 0000000040E8: D3B1402C 18025916
	v_pk_mul_f32 v[46:47], v[22:23], v[46:47]                  // 0000000040F0: D3B1402E 18025D16
	v_pk_mul_f32 v[48:49], v[22:23], v[48:49]                  // 0000000040F8: D3B14030 18026116
	v_pk_mul_f32 v[50:51], v[22:23], v[50:51]                  // 000000004100: D3B14032 18026516
	v_pk_mul_f32 v[52:53], v[22:23], v[52:53]                  // 000000004108: D3B14034 18026916
	v_pk_mul_f32 v[54:55], v[22:23], v[54:55]                  // 000000004110: D3B14036 18026D16
	v_pk_mul_f32 v[56:57], v[22:23], v[56:57]                  // 000000004118: D3B14038 18027116
	v_pk_mul_f32 v[58:59], v[22:23], v[58:59]                  // 000000004120: D3B1403A 18027516
	v_pk_mul_f32 v[60:61], v[22:23], v[60:61]                  // 000000004128: D3B1403C 18027916
	v_pk_mul_f32 v[62:63], v[22:23], v[62:63]                  // 000000004130: D3B1403E 18027D16
	v_pk_mul_f32 v[64:65], v[22:23], v[64:65]                  // 000000004138: D3B14040 18028116
	v_pk_mul_f32 v[66:67], v[22:23], v[66:67]                  // 000000004140: D3B14042 18028516
	v_pk_mul_f32 v[68:69], v[22:23], v[68:69]                  // 000000004148: D3B14044 18028916
	v_pk_mul_f32 v[70:71], v[22:23], v[70:71]                  // 000000004150: D3B14046 18028D16
	v_pk_mul_f32 v[72:73], v[22:23], v[72:73]                  // 000000004158: D3B14048 18029116
	v_pk_mul_f32 v[74:75], v[22:23], v[74:75]                  // 000000004160: D3B1404A 18029516
	v_pk_mul_f32 v[76:77], v[22:23], v[76:77]                  // 000000004168: D3B1404C 18029916
	v_pk_mul_f32 v[78:79], v[22:23], v[78:79]                  // 000000004170: D3B1404E 18029D16
	v_pk_mul_f32 v[80:81], v[22:23], v[80:81]                  // 000000004178: D3B14050 1802A116
	v_pk_mul_f32 v[82:83], v[22:23], v[82:83]                  // 000000004180: D3B14052 1802A516
	v_pk_mul_f32 v[84:85], v[22:23], v[84:85]                  // 000000004188: D3B14054 1802A916
	v_pk_mul_f32 v[86:87], v[22:23], v[86:87]                  // 000000004190: D3B14056 1802AD16
	v_pk_mul_f32 v[88:89], v[22:23], v[88:89]                  // 000000004198: D3B14058 1802B116
	v_pk_mul_f32 v[90:91], v[22:23], v[90:91]                  // 0000000041A0: D3B1405A 1802B516
	v_pk_mul_f32 v[92:93], v[22:23], v[92:93]                  // 0000000041A8: D3B1405C 1802B916
	v_pk_mul_f32 v[94:95], v[22:23], v[94:95]                  // 0000000041B0: D3B1405E 1802BD16
	v_pk_mul_f32 v[96:97], v[22:23], v[96:97]                  // 0000000041B8: D3B14060 1802C116
	v_pk_mul_f32 v[98:99], v[22:23], v[98:99]                  // 0000000041C0: D3B14062 1802C516
	v_pk_mul_f32 v[100:101], v[22:23], v[100:101]              // 0000000041C8: D3B14064 1802C916
	v_pk_mul_f32 v[102:103], v[22:23], v[102:103]              // 0000000041D0: D3B14066 1802CD16
	v_pk_mul_f32 v[104:105], v[22:23], v[104:105]              // 0000000041D8: D3B14068 1802D116
	v_pk_mul_f32 v[106:107], v[22:23], v[106:107]              // 0000000041E0: D3B1406A 1802D516
	v_pk_mul_f32 v[108:109], v[22:23], v[108:109]              // 0000000041E8: D3B1406C 1802D916
	v_pk_mul_f32 v[110:111], v[22:23], v[110:111]              // 0000000041F0: D3B1406E 1802DD16
	v_pk_mul_f32 v[112:113], v[22:23], v[112:113]              // 0000000041F8: D3B14070 1802E116
	v_pk_mul_f32 v[114:115], v[22:23], v[114:115]              // 000000004200: D3B14072 1802E516
	v_pk_mul_f32 v[116:117], v[22:23], v[116:117]              // 000000004208: D3B14074 1802E916
	v_pk_mul_f32 v[118:119], v[22:23], v[118:119]              // 000000004210: D3B14076 1802ED16
	v_pk_mul_f32 v[120:121], v[22:23], v[120:121]              // 000000004218: D3B14078 1802F116
	v_pk_mul_f32 v[122:123], v[22:23], v[122:123]              // 000000004220: D3B1407A 1802F516
	v_pk_mul_f32 v[124:125], v[22:23], v[124:125]              // 000000004228: D3B1407C 1802F916
	v_pk_mul_f32 v[126:127], v[22:23], v[126:127]              // 000000004230: D3B1407E 1802FD16
	v_pk_mul_f32 v[128:129], v[22:23], v[128:129]              // 000000004238: D3B14080 18030116
	v_pk_mul_f32 v[130:131], v[22:23], v[130:131]              // 000000004240: D3B14082 18030516
	v_pk_mul_f32 v[132:133], v[22:23], v[132:133]              // 000000004248: D3B14084 18030916
	v_pk_mul_f32 v[134:135], v[22:23], v[134:135]              // 000000004250: D3B14086 18030D16
	v_pk_mul_f32 v[136:137], v[22:23], v[136:137]              // 000000004258: D3B14088 18031116
	v_pk_mul_f32 v[138:139], v[22:23], v[138:139]              // 000000004260: D3B1408A 18031516
	v_pk_mul_f32 v[140:141], v[22:23], v[140:141]              // 000000004268: D3B1408C 18031916
	v_pk_mul_f32 v[142:143], v[22:23], v[142:143]              // 000000004270: D3B1408E 18031D16
	v_pk_mul_f32 v[144:145], v[22:23], v[144:145]              // 000000004278: D3B14090 18032116
	v_pk_mul_f32 v[146:147], v[22:23], v[146:147]              // 000000004280: D3B14092 18032516
	v_accvgpr_read_b32 v20, a216                               // 000000004288: D3D84014 180001D8
	v_accvgpr_read_b32 v21, a217                               // 000000004290: D3D84015 180001D9
	v_pk_mul_f32 v[20:21], v[22:23], v[20:21]                  // 000000004298: D3B14014 18022916
	v_accvgpr_write_b32 a216, v20                              // 0000000042A0: D3D940D8 18000114
	v_accvgpr_write_b32 a217, v21                              // 0000000042A8: D3D940D9 18000115
	v_accvgpr_read_b32 v20, a218                               // 0000000042B0: D3D84014 180001DA
	v_accvgpr_read_b32 v21, a219                               // 0000000042B8: D3D84015 180001DB
	v_pk_mul_f32 v[20:21], v[22:23], v[20:21]                  // 0000000042C0: D3B14014 18022916
	v_accvgpr_write_b32 a218, v20                              // 0000000042C8: D3D940DA 18000114
	v_accvgpr_write_b32 a219, v21                              // 0000000042D0: D3D940DB 18000115
	v_accvgpr_read_b32 v20, a220                               // 0000000042D8: D3D84014 180001DC
	v_accvgpr_read_b32 v21, a221                               // 0000000042E0: D3D84015 180001DD
	v_pk_mul_f32 v[20:21], v[22:23], v[20:21]                  // 0000000042E8: D3B14014 18022916
	v_accvgpr_write_b32 a220, v20                              // 0000000042F0: D3D940DC 18000114
	v_accvgpr_write_b32 a221, v21                              // 0000000042F8: D3D940DD 18000115
	v_accvgpr_read_b32 v20, a222                               // 000000004300: D3D84014 180001DE
	v_accvgpr_read_b32 v21, a223                               // 000000004308: D3D84015 180001DF
	v_pk_mul_f32 v[20:21], v[22:23], v[20:21]                  // 000000004310: D3B14014 18022916
	v_accvgpr_write_b32 a222, v20                              // 000000004318: D3D940DE 18000114
	v_accvgpr_write_b32 a223, v21                              // 000000004320: D3D940DF 18000115
	v_accvgpr_read_b32 v20, a224                               // 000000004328: D3D84014 180001E0
	v_accvgpr_read_b32 v21, a225                               // 000000004330: D3D84015 180001E1
	v_pk_mul_f32 v[20:21], v[22:23], v[20:21]                  // 000000004338: D3B14014 18022916
	v_accvgpr_write_b32 a224, v20                              // 000000004340: D3D940E0 18000114
	v_accvgpr_write_b32 a225, v21                              // 000000004348: D3D940E1 18000115
	v_accvgpr_read_b32 v20, a226                               // 000000004350: D3D84014 180001E2
	v_accvgpr_read_b32 v21, a227                               // 000000004358: D3D84015 180001E3
	v_pk_mul_f32 v[20:21], v[22:23], v[20:21]                  // 000000004360: D3B14014 18022916
	v_accvgpr_write_b32 a226, v20                              // 000000004368: D3D940E2 18000114
	v_accvgpr_write_b32 a227, v21                              // 000000004370: D3D940E3 18000115
	v_accvgpr_read_b32 v20, a228                               // 000000004378: D3D84014 180001E4
	v_accvgpr_read_b32 v21, a229                               // 000000004380: D3D84015 180001E5
	v_pk_mul_f32 v[20:21], v[22:23], v[20:21]                  // 000000004388: D3B14014 18022916
	v_accvgpr_write_b32 a228, v20                              // 000000004390: D3D940E4 18000114
	v_accvgpr_write_b32 a229, v21                              // 000000004398: D3D940E5 18000115
	v_accvgpr_read_b32 v20, a230                               // 0000000043A0: D3D84014 180001E6
	v_accvgpr_read_b32 v21, a231                               // 0000000043A8: D3D84015 180001E7
	v_pk_mul_f32 v[20:21], v[22:23], v[20:21]                  // 0000000043B0: D3B14014 18022916
	v_accvgpr_write_b32 a230, v20                              // 0000000043B8: D3D940E6 18000114
	v_accvgpr_write_b32 a231, v21                              // 0000000043C0: D3D940E7 18000115
	v_accvgpr_read_b32 v20, a232                               // 0000000043C8: D3D84014 180001E8
	v_accvgpr_read_b32 v21, a233                               // 0000000043D0: D3D84015 180001E9
	v_pk_mul_f32 v[20:21], v[22:23], v[20:21]                  // 0000000043D8: D3B14014 18022916
	v_accvgpr_write_b32 a232, v20                              // 0000000043E0: D3D940E8 18000114
	v_accvgpr_write_b32 a233, v21                              // 0000000043E8: D3D940E9 18000115
	v_accvgpr_read_b32 v20, a234                               // 0000000043F0: D3D84014 180001EA
	v_accvgpr_read_b32 v21, a235                               // 0000000043F8: D3D84015 180001EB
	v_pk_mul_f32 v[20:21], v[22:23], v[20:21]                  // 000000004400: D3B14014 18022916
	v_accvgpr_write_b32 a234, v20                              // 000000004408: D3D940EA 18000114
	v_accvgpr_write_b32 a235, v21                              // 000000004410: D3D940EB 18000115
	s_waitcnt lgkmcnt(0)                                       // 000000004418: BF8CC07F
	v_mfma_f32_16x16x16_bf16 v[40:43], a[144:145], v[32:33], v[40:43]// 00000000441C: D3E10028 0CA24190
	ds_read_b128 a[176:179], v7 offset:45312                   // 000000004424: DBFEB100 B0000007
	ds_read_b128 a[180:183], v7 offset:46336                   // 00000000442C: DBFEB500 B4000007
	v_mfma_f32_16x16x16_bf16 v[44:47], a[146:147], v[32:33], v[44:47]// 000000004434: D3E1002C 0CB24192
	v_mfma_f32_16x16x16_bf16 v[48:51], a[148:149], v[32:33], v[48:51]// 00000000443C: D3E10030 0CC24194
	v_mfma_f32_16x16x16_bf16 v[52:55], a[150:151], v[32:33], v[52:55]// 000000004444: D3E10034 0CD24196
	v_mfma_f32_16x16x16_bf16 v[56:59], a[152:153], v[32:33], v[56:59]// 00000000444C: D3E10038 0CE24198
	ds_read_b128 a[184:187], v7 offset:47360                   // 000000004454: DBFEB900 B8000007
	ds_read_b128 a[188:191], v7 offset:48384                   // 00000000445C: DBFEBD00 BC000007
	v_mfma_f32_16x16x16_bf16 v[60:63], a[154:155], v[32:33], v[60:63]// 000000004464: D3E1003C 0CF2419A
	v_mfma_f32_16x16x16_bf16 v[64:67], a[156:157], v[32:33], v[64:67]// 00000000446C: D3E10040 0D02419C
	v_mfma_f32_16x16x16_bf16 v[68:71], a[158:159], v[32:33], v[68:71]// 000000004474: D3E10044 0D12419E
	v_mfma_f32_16x16x16_bf16 v[72:75], a[160:161], v[32:33], v[72:75]// 00000000447C: D3E10048 0D2241A0
	ds_read_b128 a[192:195], v7 offset:49408                   // 000000004484: DBFEC100 C0000007
	ds_read_b128 a[196:199], v7 offset:50432                   // 00000000448C: DBFEC500 C4000007
	v_mfma_f32_16x16x16_bf16 v[76:79], a[162:163], v[32:33], v[76:79]// 000000004494: D3E1004C 0D3241A2
	v_mfma_f32_16x16x16_bf16 v[80:83], a[164:165], v[32:33], v[80:83]// 00000000449C: D3E10050 0D4241A4
	v_mfma_f32_16x16x16_bf16 v[84:87], a[166:167], v[32:33], v[84:87]// 0000000044A4: D3E10054 0D5241A6
	v_mfma_f32_16x16x16_bf16 v[88:91], a[168:169], v[32:33], v[88:91]// 0000000044AC: D3E10058 0D6241A8
	ds_read_b128 a[200:203], v7 offset:51456                   // 0000000044B4: DBFEC900 C8000007
	ds_read_b128 a[204:207], v7 offset:52480                   // 0000000044BC: DBFECD00 CC000007
	v_mfma_f32_16x16x16_bf16 v[92:95], a[170:171], v[32:33], v[92:95]// 0000000044C4: D3E1005C 0D7241AA
	v_mfma_f32_16x16x16_bf16 v[96:99], a[172:173], v[32:33], v[96:99]// 0000000044CC: D3E10060 0D8241AC
	v_mfma_f32_16x16x16_bf16 v[100:103], a[174:175], v[32:33], v[100:103]// 0000000044D4: D3E10064 0D9241AE
	s_waitcnt lgkmcnt(4)                                       // 0000000044DC: BF8CC47F
	v_mfma_f32_16x16x16_bf16 v[104:107], a[176:177], v[32:33], v[104:107]// 0000000044E0: D3E10068 0DA241B0
	v_max3_f32 v24, v36, v37, v36                              // 0000000044E8: D1D30018 04924B24
	v_max3_f32 v24, v38, v39, v24                              // 0000000044F0: D1D30018 04624F26
	ds_write_b32 v3, v24 offset:54528                          // 0000000044F8: D81AD500 00001803
	v_mfma_f32_16x16x16_bf16 v[108:111], a[178:179], v[32:33], v[108:111]// 000000004500: D3E1006C 0DB241B2
	v_mfma_f32_16x16x16_bf16 v[112:115], a[180:181], v[32:33], v[112:115]// 000000004508: D3E10070 0DC241B4
	v_mfma_f32_16x16x16_bf16 v[116:119], a[182:183], v[32:33], v[116:119]// 000000004510: D3E10074 0DD241B6
	v_mfma_f32_16x16x16_bf16 v[120:123], a[184:185], v[32:33], v[120:123]// 000000004518: D3E10078 0DE241B8
	v_mfma_f32_16x16x16_bf16 v[124:127], a[186:187], v[32:33], v[124:127]// 000000004520: D3E1007C 0DF241BA
	v_mfma_f32_16x16x16_bf16 v[128:131], a[188:189], v[32:33], v[128:131]// 000000004528: D3E10080 0E0241BC
	v_mfma_f32_16x16x16_bf16 v[132:135], a[190:191], v[32:33], v[132:135]// 000000004530: D3E10084 0E1241BE
	s_waitcnt lgkmcnt(0)                                       // 000000004538: BF8CC07F
	v_mfma_f32_16x16x16_bf16 v[136:139], a[192:193], v[32:33], v[136:139]// 00000000453C: D3E10088 0E2241C0
	s_waitcnt lgkmcnt(0)                                       // 000000004544: BF8CC07F
	ds_read_b32 v20, v2 offset:54528                           // 000000004548: D86CD500 14000002
	ds_read_b32 v21, v2 offset:54592                           // 000000004550: D86CD540 15000002
	v_mfma_f32_16x16x16_bf16 v[140:143], a[194:195], v[32:33], v[140:143]// 000000004558: D3E1008C 0E3241C2
	ds_read_b32 v22, v2 offset:54656                           // 000000004560: D86CD580 16000002
	ds_read_b32 v23, v2 offset:54720                           // 000000004568: D86CD5C0 17000002
	v_mfma_f32_16x16x16_bf16 v[144:147], a[196:197], v[32:33], v[144:147]// 000000004570: D3E10090 0E4241C4
	v_mfma_f32_16x16x16_bf16 a[216:219], a[198:199], v[32:33], a[216:219]// 000000004578: D3E180D8 0F6241C6
	v_mfma_f32_16x16x16_bf16 a[220:223], a[200:201], v[32:33], a[220:223]// 000000004580: D3E180DC 0F7241C8
	v_mfma_f32_16x16x16_bf16 a[224:227], a[202:203], v[32:33], a[224:227]// 000000004588: D3E180E0 0F8241CA
	v_mfma_f32_16x16x16_bf16 a[228:231], a[204:205], v[32:33], a[228:231]// 000000004590: D3E180E4 0F9241CC
	v_mfma_f32_16x16x16_bf16 a[232:235], a[206:207], v[32:33], a[232:235]// 000000004598: D3E180E8 0FA241CE
	s_waitcnt lgkmcnt(0)                                       // 0000000045A0: BF8CC07F
	v_max3_f32 v24, v20, v21, v24                              // 0000000045A4: D1D30018 04622B14
	v_max3_f32 v24, v22, v23, v24                              // 0000000045AC: D1D30018 04622F16
	v_mov_b32_e32 v25, 0xff7fffff                              // 0000000045B4: 7E3202FF FF7FFFFF
	v_cmp_eq_u32_e64 s[38:39], v25, v13                        // 0000000045BC: D0CA0026 00021B19
	v_max_f32_e32 v20, v24, v13                                // 0000000045C4: 16281B18
	v_sub_f32_e32 v17, v13, v20                                // 0000000045C8: 0422290D
	v_cndmask_b32_e64 v17, v17, 0, s[38:39]                    // 0000000045CC: D1000011 00990111
	v_mov_b32_e32 v13, v20                                     // 0000000045D4: 7E1A0314
	v_mul_f32_e32 v21, s5, v20                                 // 0000000045D8: 0A2A2805
	v_mul_f32_e32 v17, s5, v17                                 // 0000000045DC: 0A222205
	v_exp_f32_e32 v17, v17                                     // 0000000045E0: 7E224111
	v_fma_f32 v36, v36, s5, -v21                               // 0000000045E4: D1CB0024 84540B24
	v_fma_f32 v37, v37, s5, -v21                               // 0000000045EC: D1CB0025 84540B25
	v_fma_f32 v38, v38, s5, -v21                               // 0000000045F4: D1CB0026 84540B26
	v_fma_f32 v39, v39, s5, -v21                               // 0000000045FC: D1CB0027 84540B27
	v_exp_f32_e32 v36, v36                                     // 000000004604: 7E484124
	v_exp_f32_e32 v37, v37                                     // 000000004608: 7E4A4125
	v_exp_f32_e32 v38, v38                                     // 00000000460C: 7E4C4126
	v_exp_f32_e32 v39, v39                                     // 000000004610: 7E4E4127
	v_mul_f32_e32 v15, v17, v15                                // 000000004614: 0A1E1F11
	v_mov_b32_e32 v22, v36                                     // 000000004618: 7E2C0324
	v_add_f32_e32 v22, v37, v22                                // 00000000461C: 022C2D25
	v_add_f32_e32 v22, v38, v22                                // 000000004620: 022C2D26
	v_add_f32_e32 v22, v39, v22                                // 000000004624: 022C2D27
	v_add_f32_e32 v15, v22, v15                                // 000000004628: 021E1F16
	v_mov_b32_e32 v29, 0xffff0000                              // 00000000462C: 7E3A02FF FFFF0000
	v_mov_b32_e32 v30, 0x7fff0000                              // 000000004634: 7E3C02FF 7FFF0000
	v_mov_b32_e32 v31, 0x7fff                                  // 00000000463C: 7E3E02FF 00007FFF
	v_cmp_u_f32_e64 s[38:39], v36, v36                         // 000000004644: D0480026 00024924
	v_add3_u32 v28, v36, v31, 1                                // 00000000464C: D1FF001C 02063F24
	v_cndmask_b32_e64 v20, v28, v30, s[38:39]                  // 000000004654: D1000014 009A3D1C
	v_cmp_u_f32_e64 s[38:39], v37, v37                         // 00000000465C: D0480026 00024B25
	v_add3_u32 v28, v37, v31, 1                                // 000000004664: D1FF001C 02063F25
	v_cndmask_b32_e64 v21, v28, v30, s[38:39]                  // 00000000466C: D1000015 009A3D1C
	v_perm_b32 v36, v21, v20, s52                              // 000000004674: D1ED0024 00D22915
	v_cmp_u_f32_e64 s[38:39], v38, v38                         // 00000000467C: D0480026 00024D26
	v_add3_u32 v28, v38, v31, 1                                // 000000004684: D1FF001C 02063F26
	v_cndmask_b32_e64 v20, v28, v30, s[38:39]                  // 00000000468C: D1000014 009A3D1C
	v_cmp_u_f32_e64 s[38:39], v39, v39                         // 000000004694: D0480026 00024F27
	v_add3_u32 v28, v39, v31, 1                                // 00000000469C: D1FF001C 02063F27
	v_cndmask_b32_e64 v21, v28, v30, s[38:39]                  // 0000000046A4: D1000015 009A3D1C
	v_perm_b32 v37, v21, v20, s52                              // 0000000046AC: D1ED0025 00D22915
	s_nop 2                                                    // 0000000046B4: BF800002
	v_mov_b32_e32 v22, v17                                     // 0000000046B8: 7E2C0311
	v_mov_b32_e32 v23, v17                                     // 0000000046BC: 7E2E0311
	v_pk_mul_f32 v[148:149], v[22:23], v[148:149]              // 0000000046C0: D3B14094 18032916
	v_pk_mul_f32 v[150:151], v[22:23], v[150:151]              // 0000000046C8: D3B14096 18032D16
	v_pk_mul_f32 v[152:153], v[22:23], v[152:153]              // 0000000046D0: D3B14098 18033116
	v_pk_mul_f32 v[154:155], v[22:23], v[154:155]              // 0000000046D8: D3B1409A 18033516
	v_pk_mul_f32 v[156:157], v[22:23], v[156:157]              // 0000000046E0: D3B1409C 18033916
	v_pk_mul_f32 v[158:159], v[22:23], v[158:159]              // 0000000046E8: D3B1409E 18033D16
	v_pk_mul_f32 v[160:161], v[22:23], v[160:161]              // 0000000046F0: D3B140A0 18034116
	v_pk_mul_f32 v[162:163], v[22:23], v[162:163]              // 0000000046F8: D3B140A2 18034516
	v_pk_mul_f32 v[164:165], v[22:23], v[164:165]              // 000000004700: D3B140A4 18034916
	v_pk_mul_f32 v[166:167], v[22:23], v[166:167]              // 000000004708: D3B140A6 18034D16
	v_pk_mul_f32 v[168:169], v[22:23], v[168:169]              // 000000004710: D3B140A8 18035116
	v_pk_mul_f32 v[170:171], v[22:23], v[170:171]              // 000000004718: D3B140AA 18035516
	v_pk_mul_f32 v[172:173], v[22:23], v[172:173]              // 000000004720: D3B140AC 18035916
	v_pk_mul_f32 v[174:175], v[22:23], v[174:175]              // 000000004728: D3B140AE 18035D16
	v_pk_mul_f32 v[176:177], v[22:23], v[176:177]              // 000000004730: D3B140B0 18036116
	v_pk_mul_f32 v[178:179], v[22:23], v[178:179]              // 000000004738: D3B140B2 18036516
	v_pk_mul_f32 v[180:181], v[22:23], v[180:181]              // 000000004740: D3B140B4 18036916
	v_pk_mul_f32 v[182:183], v[22:23], v[182:183]              // 000000004748: D3B140B6 18036D16
	v_pk_mul_f32 v[184:185], v[22:23], v[184:185]              // 000000004750: D3B140B8 18037116
	v_pk_mul_f32 v[186:187], v[22:23], v[186:187]              // 000000004758: D3B140BA 18037516
	v_pk_mul_f32 v[188:189], v[22:23], v[188:189]              // 000000004760: D3B140BC 18037916
	v_pk_mul_f32 v[190:191], v[22:23], v[190:191]              // 000000004768: D3B140BE 18037D16
	v_pk_mul_f32 v[192:193], v[22:23], v[192:193]              // 000000004770: D3B140C0 18038116
	v_pk_mul_f32 v[194:195], v[22:23], v[194:195]              // 000000004778: D3B140C2 18038516
	v_pk_mul_f32 v[196:197], v[22:23], v[196:197]              // 000000004780: D3B140C4 18038916
	v_pk_mul_f32 v[198:199], v[22:23], v[198:199]              // 000000004788: D3B140C6 18038D16
	v_pk_mul_f32 v[200:201], v[22:23], v[200:201]              // 000000004790: D3B140C8 18039116
	v_pk_mul_f32 v[202:203], v[22:23], v[202:203]              // 000000004798: D3B140CA 18039516
	v_pk_mul_f32 v[204:205], v[22:23], v[204:205]              // 0000000047A0: D3B140CC 18039916
	v_pk_mul_f32 v[206:207], v[22:23], v[206:207]              // 0000000047A8: D3B140CE 18039D16
	v_pk_mul_f32 v[208:209], v[22:23], v[208:209]              // 0000000047B0: D3B140D0 1803A116
	v_pk_mul_f32 v[210:211], v[22:23], v[210:211]              // 0000000047B8: D3B140D2 1803A516
	v_pk_mul_f32 v[212:213], v[22:23], v[212:213]              // 0000000047C0: D3B140D4 1803A916
	v_pk_mul_f32 v[214:215], v[22:23], v[214:215]              // 0000000047C8: D3B140D6 1803AD16
	v_pk_mul_f32 v[216:217], v[22:23], v[216:217]              // 0000000047D0: D3B140D8 1803B116
	v_pk_mul_f32 v[218:219], v[22:23], v[218:219]              // 0000000047D8: D3B140DA 1803B516
	v_pk_mul_f32 v[220:221], v[22:23], v[220:221]              // 0000000047E0: D3B140DC 1803B916
	v_pk_mul_f32 v[222:223], v[22:23], v[222:223]              // 0000000047E8: D3B140DE 1803BD16
	v_pk_mul_f32 v[224:225], v[22:23], v[224:225]              // 0000000047F0: D3B140E0 1803C116
	v_pk_mul_f32 v[226:227], v[22:23], v[226:227]              // 0000000047F8: D3B140E2 1803C516
	v_pk_mul_f32 v[228:229], v[22:23], v[228:229]              // 000000004800: D3B140E4 1803C916
	v_pk_mul_f32 v[230:231], v[22:23], v[230:231]              // 000000004808: D3B140E6 1803CD16
	v_pk_mul_f32 v[232:233], v[22:23], v[232:233]              // 000000004810: D3B140E8 1803D116
	v_pk_mul_f32 v[234:235], v[22:23], v[234:235]              // 000000004818: D3B140EA 1803D516
	v_pk_mul_f32 v[236:237], v[22:23], v[236:237]              // 000000004820: D3B140EC 1803D916
	v_pk_mul_f32 v[238:239], v[22:23], v[238:239]              // 000000004828: D3B140EE 1803DD16
	v_pk_mul_f32 v[240:241], v[22:23], v[240:241]              // 000000004830: D3B140F0 1803E116
	v_pk_mul_f32 v[242:243], v[22:23], v[242:243]              // 000000004838: D3B140F2 1803E516
	v_pk_mul_f32 v[244:245], v[22:23], v[244:245]              // 000000004840: D3B140F4 1803E916
	v_pk_mul_f32 v[246:247], v[22:23], v[246:247]              // 000000004848: D3B140F6 1803ED16
	v_pk_mul_f32 v[248:249], v[22:23], v[248:249]              // 000000004850: D3B140F8 1803F116
	v_pk_mul_f32 v[250:251], v[22:23], v[250:251]              // 000000004858: D3B140FA 1803F516
	v_pk_mul_f32 v[252:253], v[22:23], v[252:253]              // 000000004860: D3B140FC 1803F916
	v_pk_mul_f32 v[254:255], v[22:23], v[254:255]              // 000000004868: D3B140FE 1803FD16
	v_accvgpr_read_b32 v20, a236                               // 000000004870: D3D84014 180001EC
	v_accvgpr_read_b32 v21, a237                               // 000000004878: D3D84015 180001ED
	v_pk_mul_f32 v[20:21], v[22:23], v[20:21]                  // 000000004880: D3B14014 18022916
	v_accvgpr_write_b32 a236, v20                              // 000000004888: D3D940EC 18000114
	v_accvgpr_write_b32 a237, v21                              // 000000004890: D3D940ED 18000115
	v_accvgpr_read_b32 v20, a238                               // 000000004898: D3D84014 180001EE
	v_accvgpr_read_b32 v21, a239                               // 0000000048A0: D3D84015 180001EF
	v_pk_mul_f32 v[20:21], v[22:23], v[20:21]                  // 0000000048A8: D3B14014 18022916
	v_accvgpr_write_b32 a238, v20                              // 0000000048B0: D3D940EE 18000114
	v_accvgpr_write_b32 a239, v21                              // 0000000048B8: D3D940EF 18000115
	v_accvgpr_read_b32 v20, a240                               // 0000000048C0: D3D84014 180001F0
	v_accvgpr_read_b32 v21, a241                               // 0000000048C8: D3D84015 180001F1
	v_pk_mul_f32 v[20:21], v[22:23], v[20:21]                  // 0000000048D0: D3B14014 18022916
	v_accvgpr_write_b32 a240, v20                              // 0000000048D8: D3D940F0 18000114
	v_accvgpr_write_b32 a241, v21                              // 0000000048E0: D3D940F1 18000115
	v_accvgpr_read_b32 v20, a242                               // 0000000048E8: D3D84014 180001F2
	v_accvgpr_read_b32 v21, a243                               // 0000000048F0: D3D84015 180001F3
	v_pk_mul_f32 v[20:21], v[22:23], v[20:21]                  // 0000000048F8: D3B14014 18022916
	v_accvgpr_write_b32 a242, v20                              // 000000004900: D3D940F2 18000114
	v_accvgpr_write_b32 a243, v21                              // 000000004908: D3D940F3 18000115
	v_accvgpr_read_b32 v20, a244                               // 000000004910: D3D84014 180001F4
	v_accvgpr_read_b32 v21, a245                               // 000000004918: D3D84015 180001F5
	v_pk_mul_f32 v[20:21], v[22:23], v[20:21]                  // 000000004920: D3B14014 18022916
	v_accvgpr_write_b32 a244, v20                              // 000000004928: D3D940F4 18000114
	v_accvgpr_write_b32 a245, v21                              // 000000004930: D3D940F5 18000115
	v_accvgpr_read_b32 v20, a246                               // 000000004938: D3D84014 180001F6
	v_accvgpr_read_b32 v21, a247                               // 000000004940: D3D84015 180001F7
	v_pk_mul_f32 v[20:21], v[22:23], v[20:21]                  // 000000004948: D3B14014 18022916
	v_accvgpr_write_b32 a246, v20                              // 000000004950: D3D940F6 18000114
	v_accvgpr_write_b32 a247, v21                              // 000000004958: D3D940F7 18000115
	v_accvgpr_read_b32 v20, a248                               // 000000004960: D3D84014 180001F8
	v_accvgpr_read_b32 v21, a249                               // 000000004968: D3D84015 180001F9
	v_pk_mul_f32 v[20:21], v[22:23], v[20:21]                  // 000000004970: D3B14014 18022916
	v_accvgpr_write_b32 a248, v20                              // 000000004978: D3D940F8 18000114
	v_accvgpr_write_b32 a249, v21                              // 000000004980: D3D940F9 18000115
	v_accvgpr_read_b32 v20, a250                               // 000000004988: D3D84014 180001FA
	v_accvgpr_read_b32 v21, a251                               // 000000004990: D3D84015 180001FB
	v_pk_mul_f32 v[20:21], v[22:23], v[20:21]                  // 000000004998: D3B14014 18022916
	v_accvgpr_write_b32 a250, v20                              // 0000000049A0: D3D940FA 18000114
	v_accvgpr_write_b32 a251, v21                              // 0000000049A8: D3D940FB 18000115
	v_accvgpr_read_b32 v20, a252                               // 0000000049B0: D3D84014 180001FC
	v_accvgpr_read_b32 v21, a253                               // 0000000049B8: D3D84015 180001FD
	v_pk_mul_f32 v[20:21], v[22:23], v[20:21]                  // 0000000049C0: D3B14014 18022916
	v_accvgpr_write_b32 a252, v20                              // 0000000049C8: D3D940FC 18000114
	v_accvgpr_write_b32 a253, v21                              // 0000000049D0: D3D940FD 18000115
	v_accvgpr_read_b32 v20, a254                               // 0000000049D8: D3D84014 180001FE
	v_accvgpr_read_b32 v21, a255                               // 0000000049E0: D3D84015 180001FF
	v_pk_mul_f32 v[20:21], v[22:23], v[20:21]                  // 0000000049E8: D3B14014 18022916
	v_accvgpr_write_b32 a254, v20                              // 0000000049F0: D3D940FE 18000114
	v_accvgpr_write_b32 a255, v21                              // 0000000049F8: D3D940FF 18000115
	s_waitcnt vmcnt(18) lgkmcnt(0)                             // 000000004A00: BF8C4072
	s_barrier                                                  // 000000004A04: BF8A0000
	v_mfma_f32_16x16x16_bf16 v[148:151], a[144:145], v[36:37], v[148:151]// 000000004A08: D3E10094 0E524990
	v_mfma_f32_16x16x16_bf16 v[152:155], a[146:147], v[36:37], v[152:155]// 000000004A10: D3E10098 0E624992
	ds_read_b64 v[20:21], v5                                   // 000000004A18: D8EC0000 14000005
	ds_read_b64 v[22:23], v5 offset:4640                       // 000000004A20: D8EC1220 16000005
	ds_read_b64 v[24:25], v5 offset:9280                       // 000000004A28: D8EC2440 18000005
	ds_read_b64 v[26:27], v5 offset:13920                      // 000000004A30: D8EC3660 1A000005
	v_mfma_f32_16x16x16_bf16 v[156:159], a[148:149], v[36:37], v[156:159]// 000000004A38: D3E1009C 0E724994
	v_mfma_f32_16x16x16_bf16 v[160:163], a[150:151], v[36:37], v[160:163]// 000000004A40: D3E100A0 0E824996
	v_mfma_f32_16x16x16_bf16 v[164:167], a[152:153], v[36:37], v[164:167]// 000000004A48: D3E100A4 0E924998
	v_mfma_f32_16x16x16_bf16 v[168:171], a[154:155], v[36:37], v[168:171]// 000000004A50: D3E100A8 0EA2499A
	ds_read_b128 a[144:147], v4                                // 000000004A58: DBFE0000 90000004
	ds_read_b128 a[148:151], v4 offset:64                      // 000000004A60: DBFE0040 94000004
	v_mfma_f32_16x16x16_bf16 v[172:175], a[156:157], v[36:37], v[172:175]// 000000004A68: D3E100AC 0EB2499C
	v_mfma_f32_16x16x16_bf16 v[176:179], a[158:159], v[36:37], v[176:179]// 000000004A70: D3E100B0 0EC2499E
	s_waitcnt lgkmcnt(2)                                       // 000000004A78: BF8CC27F
	v_perm_b32 v28, v22, v20, s53                              // 000000004A7C: D1ED001C 00D62916
	v_perm_b32 v30, v22, v20, s52                              // 000000004A84: D1ED001E 00D22916
	v_perm_b32 v29, v26, v24, s53                              // 000000004A8C: D1ED001D 00D6311A
	v_perm_b32 v31, v26, v24, s52                              // 000000004A94: D1ED001F 00D2311A
	v_mfma_f32_16x16x16_bf16 v[180:183], a[160:161], v[36:37], v[180:183]// 000000004A9C: D3E100B4 0ED249A0
	v_mfma_f32_16x16x16_bf16 v[184:187], a[162:163], v[36:37], v[184:187]// 000000004AA4: D3E100B8 0EE249A2
	ds_write_b128 v6, v[28:31] offset:37120                    // 000000004AAC: D9BE9100 00001C06
	v_mfma_f32_16x16x16_bf16 v[188:191], a[164:165], v[36:37], v[188:191]// 000000004AB4: D3E100BC 0EF249A4
	v_mfma_f32_16x16x16_bf16 v[192:195], a[166:167], v[36:37], v[192:195]// 000000004ABC: D3E100C0 0F0249A6
	v_perm_b32 v28, v23, v21, s53                              // 000000004AC4: D1ED001C 00D62B17
	v_perm_b32 v30, v23, v21, s52                              // 000000004ACC: D1ED001E 00D22B17
	v_perm_b32 v29, v27, v25, s53                              // 000000004AD4: D1ED001D 00D6331B
	v_perm_b32 v31, v27, v25, s52                              // 000000004ADC: D1ED001F 00D2331B
	v_mfma_f32_16x16x16_bf16 v[196:199], a[168:169], v[36:37], v[196:199]// 000000004AE4: D3E100C4 0F1249A8
	v_mfma_f32_16x16x16_bf16 v[200:203], a[170:171], v[36:37], v[200:203]// 000000004AEC: D3E100C8 0F2249AA
	ds_write_b128 v6, v[28:31] offset:38144                    // 000000004AF4: D9BE9500 00001C06
	v_mfma_f32_16x16x16_bf16 v[204:207], a[172:173], v[36:37], v[204:207]// 000000004AFC: D3E100CC 0F3249AC
	v_mfma_f32_16x16x16_bf16 v[208:211], a[174:175], v[36:37], v[208:211]// 000000004B04: D3E100D0 0F4249AE
	v_mfma_f32_16x16x16_bf16 v[212:215], a[176:177], v[36:37], v[212:215]// 000000004B0C: D3E100D4 0F5249B0
	v_mfma_f32_16x16x16_bf16 v[216:219], a[178:179], v[36:37], v[216:219]// 000000004B14: D3E100D8 0F6249B2
	ds_read_b64 v[20:21], v5 offset:1024                       // 000000004B1C: D8EC0400 14000005
	ds_read_b64 v[22:23], v5 offset:5664                       // 000000004B24: D8EC1620 16000005
	v_mfma_f32_16x16x16_bf16 v[220:223], a[180:181], v[36:37], v[220:223]// 000000004B2C: D3E100DC 0F7249B4
	v_mfma_f32_16x16x16_bf16 v[224:227], a[182:183], v[36:37], v[224:227]// 000000004B34: D3E100E0 0F8249B6
	ds_read_b64 v[24:25], v5 offset:10304                      // 000000004B3C: D8EC2840 18000005
	ds_read_b64 v[26:27], v5 offset:14944                      // 000000004B44: D8EC3A60 1A000005
	v_mfma_f32_16x16x16_bf16 v[228:231], a[184:185], v[36:37], v[228:231]// 000000004B4C: D3E100E4 0F9249B8
	v_mfma_f32_16x16x16_bf16 v[232:235], a[186:187], v[36:37], v[232:235]// 000000004B54: D3E100E8 0FA249BA
	ds_read_b128 a[152:155], v4 offset:256                     // 000000004B5C: DBFE0100 98000004
	ds_read_b128 a[156:159], v4 offset:320                     // 000000004B64: DBFE0140 9C000004
	v_mfma_f32_16x16x16_bf16 v[236:239], a[188:189], v[36:37], v[236:239]// 000000004B6C: D3E100EC 0FB249BC
	v_mfma_f32_16x16x16_bf16 v[240:243], a[190:191], v[36:37], v[240:243]// 000000004B74: D3E100F0 0FC249BE
	v_mfma_f32_16x16x16_bf16 v[244:247], a[192:193], v[36:37], v[244:247]// 000000004B7C: D3E100F4 0FD249C0
	v_mfma_f32_16x16x16_bf16 v[248:251], a[194:195], v[36:37], v[248:251]// 000000004B84: D3E100F8 0FE249C2
	ds_read_b128 a[160:163], v4 offset:512                     // 000000004B8C: DBFE0200 A0000004
	ds_read_b128 a[164:167], v4 offset:576                     // 000000004B94: DBFE0240 A4000004
	v_mfma_f32_16x16x16_bf16 v[252:255], a[196:197], v[36:37], v[252:255]// 000000004B9C: D3E100FC 0FF249C4
	v_mfma_f32_16x16x16_bf16 a[236:239], a[198:199], v[36:37], a[236:239]// 000000004BA4: D3E180EC 0FB249C6
	v_mfma_f32_16x16x16_bf16 a[240:243], a[200:201], v[36:37], a[240:243]// 000000004BAC: D3E180F0 0FC249C8
	v_mfma_f32_16x16x16_bf16 a[244:247], a[202:203], v[36:37], a[244:247]// 000000004BB4: D3E180F4 0FD249CA
	ds_read_b128 a[168:171], v4 offset:768                     // 000000004BBC: DBFE0300 A8000004
	ds_read_b128 a[172:175], v4 offset:832                     // 000000004BC4: DBFE0340 AC000004
	v_mfma_f32_16x16x16_bf16 a[248:251], a[204:205], v[36:37], a[248:251]// 000000004BCC: D3E180F8 0FE249CC
	v_mfma_f32_16x16x16_bf16 a[252:255], a[206:207], v[36:37], a[252:255]// 000000004BD4: D3E180FC 0FF249CE
	s_nop 0                                                    // 000000004BDC: BF800000
	s_addk_i32 s70, 0x1                                        // 000000004BE0: B7460001
	s_cmp_lt_i32 s70, s71                                      // 000000004BE4: BF044746
	s_cbranch_scc0 label_0EFC                                  // 000000004BE8: BF840001
	s_branch label_0683                                        // 000000004BEC: BF82F787

0000000000004bf0 <label_0EFC>:
	s_nop 0                                                    // 000000004BF0: BF800000
	s_nop 0                                                    // 000000004BF4: BF800000
	s_branch label_1778                                        // 000000004BF8: BF820879

0000000000004bfc <label_0EFF>:
	s_waitcnt lgkmcnt(4)                                       // 000000004BFC: BF8CC47F
	v_mfma_f32_16x16x16_bf16 v[32:35], a[144:145], a[0:1], 0   // 000000004C00: D3E10020 1A020190
	buffer_load_dword v10, v8, s[24:27], 0 offen               // 000000004C08: E0501000 80060A08
	v_mfma_f32_16x16x16_bf16 v[32:35], a[146:147], a[2:3], v[32:35]// 000000004C10: D3E10020 1C820592
	ds_read_b128 a[176:179], v4 offset:1024                    // 000000004C18: DBFE0400 B0000004
	ds_read_b128 a[180:183], v4 offset:1088                    // 000000004C20: DBFE0440 B4000004
	v_mfma_f32_16x16x16_bf16 v[32:35], a[148:149], a[4:5], v[32:35]// 000000004C28: D3E10020 1C820994
	v_mfma_f32_16x16x16_bf16 v[32:35], a[150:151], a[6:7], v[32:35]// 000000004C30: D3E10020 1C820D96
	v_mfma_f32_16x16x16_bf16 v[32:35], a[152:153], a[8:9], v[32:35]// 000000004C38: D3E10020 1C821198
	v_mfma_f32_16x16x16_bf16 v[32:35], a[154:155], a[10:11], v[32:35]// 000000004C40: D3E10020 1C82159A
	ds_read_b128 a[184:187], v4 offset:1280                    // 000000004C48: DBFE0500 B8000004
	ds_read_b128 a[188:191], v4 offset:1344                    // 000000004C50: DBFE0540 BC000004
	v_mfma_f32_16x16x16_bf16 v[32:35], a[156:157], a[12:13], v[32:35]// 000000004C58: D3E10020 1C82199C
	v_mfma_f32_16x16x16_bf16 v[32:35], a[158:159], a[14:15], v[32:35]// 000000004C60: D3E10020 1C821D9E
	s_waitcnt lgkmcnt(4)                                       // 000000004C68: BF8CC47F
	v_mfma_f32_16x16x16_bf16 v[32:35], a[160:161], a[16:17], v[32:35]// 000000004C6C: D3E10020 1C8221A0
	v_mfma_f32_16x16x16_bf16 v[32:35], a[162:163], a[18:19], v[32:35]// 000000004C74: D3E10020 1C8225A2
	ds_read_b128 a[192:195], v4 offset:1536                    // 000000004C7C: DBFE0600 C0000004
	ds_read_b128 a[196:199], v4 offset:1600                    // 000000004C84: DBFE0640 C4000004
	v_mfma_f32_16x16x16_bf16 v[32:35], a[164:165], a[20:21], v[32:35]// 000000004C8C: D3E10020 1C8229A4
	v_mfma_f32_16x16x16_bf16 v[32:35], a[166:167], a[22:23], v[32:35]// 000000004C94: D3E10020 1C822DA6
	v_mfma_f32_16x16x16_bf16 v[32:35], a[168:169], a[24:25], v[32:35]// 000000004C9C: D3E10020 1C8231A8
	v_mfma_f32_16x16x16_bf16 v[32:35], a[170:171], a[26:27], v[32:35]// 000000004CA4: D3E10020 1C8235AA
	ds_read_b128 a[200:203], v4 offset:1792                    // 000000004CAC: DBFE0700 C8000004
	ds_read_b128 a[204:207], v4 offset:1856                    // 000000004CB4: DBFE0740 CC000004
	v_mfma_f32_16x16x16_bf16 v[32:35], a[172:173], a[28:29], v[32:35]// 000000004CBC: D3E10020 1C8239AC
	v_mfma_f32_16x16x16_bf16 v[32:35], a[174:175], a[30:31], v[32:35]// 000000004CC4: D3E10020 1C823DAE
	s_waitcnt lgkmcnt(4)                                       // 000000004CCC: BF8CC47F
	s_barrier                                                  // 000000004CD0: BF8A0000
	v_mfma_f32_16x16x16_bf16 v[32:35], a[176:177], a[32:33], v[32:35]// 000000004CD4: D3E10020 1C8241B0
	v_mfma_f32_16x16x16_bf16 v[32:35], a[178:179], a[34:35], v[32:35]// 000000004CDC: D3E10020 1C8245B2
	ds_read_b128 a[208:211], v4 offset:2048                    // 000000004CE4: DBFE0800 D0000004
	ds_read_b128 a[212:215], v4 offset:2112                    // 000000004CEC: DBFE0840 D4000004
	v_mfma_f32_16x16x16_bf16 v[32:35], a[180:181], a[36:37], v[32:35]// 000000004CF4: D3E10020 1C8249B4
	buffer_load_dword v18, s[20:23], 0 offen lds               // 000000004CFC: E0511000 80050012
	s_add_u32 m0, 0, s35                                       // 000000004D04: 807C2380
	v_mfma_f32_16x16x16_bf16 v[32:35], a[182:183], a[38:39], v[32:35]// 000000004D08: D3E10020 1C824DB6
	v_perm_b32 v28, v22, v20, s53                              // 000000004D10: D1ED001C 00D62916
	v_perm_b32 v30, v22, v20, s52                              // 000000004D18: D1ED001E 00D22916
	v_perm_b32 v29, v26, v24, s53                              // 000000004D20: D1ED001D 00D6311A
	v_perm_b32 v31, v26, v24, s52                              // 000000004D28: D1ED001F 00D2311A
	v_mfma_f32_16x16x16_bf16 v[32:35], a[184:185], a[40:41], v[32:35]// 000000004D30: D3E10020 1C8251B8
	buffer_load_dword v19, s[20:23], 0 offen lds               // 000000004D38: E0511000 80050013
	s_add_u32 m0, 0x80, s34                                    // 000000004D40: 807C22FF 00000080
	v_mfma_f32_16x16x16_bf16 v[32:35], a[186:187], a[42:43], v[32:35]// 000000004D48: D3E10020 1C8255BA
	ds_write_b128 v6, v[28:31] offset:45312                    // 000000004D50: D9BEB100 00001C06
	v_mfma_f32_16x16x16_bf16 v[32:35], a[188:189], a[44:45], v[32:35]// 000000004D58: D3E10020 1C8259BC
	buffer_load_dword v18, s[20:23], 0 offen offset:128 lds    // 000000004D60: E0511080 80050012
	s_add_u32 m0, 0x80, s35                                    // 000000004D68: 807C23FF 00000080
	v_mfma_f32_16x16x16_bf16 v[32:35], a[190:191], a[46:47], v[32:35]// 000000004D70: D3E10020 1C825DBE
	v_perm_b32 v28, v23, v21, s53                              // 000000004D78: D1ED001C 00D62B17
	v_perm_b32 v30, v23, v21, s52                              // 000000004D80: D1ED001E 00D22B17
	v_perm_b32 v29, v27, v25, s53                              // 000000004D88: D1ED001D 00D6331B
	v_perm_b32 v31, v27, v25, s52                              // 000000004D90: D1ED001F 00D2331B
	s_waitcnt lgkmcnt(1)                                       // 000000004D98: BF8CC17F
	v_mfma_f32_16x16x16_bf16 v[32:35], a[192:193], a[48:49], v[32:35]// 000000004D9C: D3E10020 1C8261C0
	buffer_load_dword v19, s[20:23], 0 offen offset:128 lds    // 000000004DA4: E0511080 80050013
	s_add_u32 m0, 0x100, s34                                   // 000000004DAC: 807C22FF 00000100
	v_mfma_f32_16x16x16_bf16 v[32:35], a[194:195], a[50:51], v[32:35]// 000000004DB4: D3E10020 1C8265C2
	ds_write_b128 v6, v[28:31] offset:46336                    // 000000004DBC: D9BEB500 00001C06
	v_mfma_f32_16x16x16_bf16 v[32:35], a[196:197], a[52:53], v[32:35]// 000000004DC4: D3E10020 1C8269C4
	buffer_load_dword v18, s[20:23], 0 offen offset:256 lds    // 000000004DCC: E0511100 80050012
	s_add_u32 m0, 0x100, s35                                   // 000000004DD4: 807C23FF 00000100
	v_mfma_f32_16x16x16_bf16 v[32:35], a[198:199], a[54:55], v[32:35]// 000000004DDC: D3E10020 1C826DC6
	v_mfma_f32_16x16x16_bf16 v[32:35], a[200:201], a[56:57], v[32:35]// 000000004DE4: D3E10020 1C8271C8
	buffer_load_dword v19, s[20:23], 0 offen offset:256 lds    // 000000004DEC: E0511100 80050013
	s_add_u32 m0, 0x180, s34                                   // 000000004DF4: 807C22FF 00000180
	v_mfma_f32_16x16x16_bf16 v[32:35], a[202:203], a[58:59], v[32:35]// 000000004DFC: D3E10020 1C8275CA
	v_mfma_f32_16x16x16_bf16 v[32:35], a[204:205], a[60:61], v[32:35]// 000000004E04: D3E10020 1C8279CC
	buffer_load_dword v18, s[20:23], 0 offen offset:384 lds    // 000000004E0C: E0511180 80050012
	s_add_u32 m0, 0x180, s35                                   // 000000004E14: 807C23FF 00000180
	v_mfma_f32_16x16x16_bf16 v[32:35], a[206:207], a[62:63], v[32:35]// 000000004E1C: D3E10020 1C827DCE
	v_mfma_f32_16x16x16_bf16 v[32:35], a[208:209], a[64:65], v[32:35]// 000000004E24: D3E10020 1C8281D0
	buffer_load_dword v19, s[20:23], 0 offen offset:384 lds    // 000000004E2C: E0511180 80050013
	s_add_u32 m0, 0x200, s34                                   // 000000004E34: 807C22FF 00000200
	v_mfma_f32_16x16x16_bf16 v[32:35], a[210:211], a[66:67], v[32:35]// 000000004E3C: D3E10020 1C8285D2
	v_mfma_f32_16x16x16_bf16 v[32:35], a[212:213], a[68:69], v[32:35]// 000000004E44: D3E10020 1C8289D4
	buffer_load_dword v18, s[20:23], 0 offen offset:512 lds    // 000000004E4C: E0511200 80050012
	s_add_u32 m0, 0x200, s35                                   // 000000004E54: 807C23FF 00000200
	v_mfma_f32_16x16x16_bf16 v[32:35], a[214:215], a[70:71], v[32:35]// 000000004E5C: D3E10020 1C828DD6
	v_add_u32_e32 v8, s73, v8                                  // 000000004E64: 68101049
	s_waitcnt lgkmcnt(0)                                       // 000000004E68: BF8CC07F
	s_barrier                                                  // 000000004E6C: BF8A0000
	v_mfma_f32_16x16x16_bf16 v[36:39], a[144:145], a[72:73], 0 // 000000004E70: D3E10024 1A029190
	v_mfma_f32_16x16x16_bf16 v[36:39], a[146:147], a[74:75], v[36:39]// 000000004E78: D3E10024 1C929592
	v_max3_f32 v24, v32, v33, v32                              // 000000004E80: D1D30018 04824320
	v_max3_f32 v24, v34, v35, v24                              // 000000004E88: D1D30018 04624722
	ds_write_b32 v3, v24 offset:53504                          // 000000004E90: D81AD100 00001803
	v_mfma_f32_16x16x16_bf16 v[36:39], a[148:149], a[76:77], v[36:39]// 000000004E98: D3E10024 1C929994
	buffer_load_dword v19, s[20:23], 0 offen offset:512 lds    // 000000004EA0: E0511200 80050013
	s_add_u32 m0, 0x280, s34                                   // 000000004EA8: 807C22FF 00000280
	v_mfma_f32_16x16x16_bf16 v[36:39], a[150:151], a[78:79], v[36:39]// 000000004EB0: D3E10024 1C929D96
	v_mfma_f32_16x16x16_bf16 v[36:39], a[152:153], a[80:81], v[36:39]// 000000004EB8: D3E10024 1C92A198
	buffer_load_dword v18, s[20:23], 0 offen offset:640 lds    // 000000004EC0: E0511280 80050012
	s_add_u32 m0, 0x280, s35                                   // 000000004EC8: 807C23FF 00000280
	v_mfma_f32_16x16x16_bf16 v[36:39], a[154:155], a[82:83], v[36:39]// 000000004ED0: D3E10024 1C92A59A
	v_mfma_f32_16x16x16_bf16 v[36:39], a[156:157], a[84:85], v[36:39]// 000000004ED8: D3E10024 1C92A99C
	s_waitcnt lgkmcnt(0)                                       // 000000004EE0: BF8CC07F
	ds_read_b32 v20, v2 offset:53504                           // 000000004EE4: D86CD100 14000002
	ds_read_b32 v21, v2 offset:53568                           // 000000004EEC: D86CD140 15000002
	v_mfma_f32_16x16x16_bf16 v[36:39], a[158:159], a[86:87], v[36:39]// 000000004EF4: D3E10024 1C92AD9E
	ds_read_b32 v22, v2 offset:53632                           // 000000004EFC: D86CD180 16000002
	ds_read_b32 v23, v2 offset:53696                           // 000000004F04: D86CD1C0 17000002
	v_mfma_f32_16x16x16_bf16 v[36:39], a[160:161], a[88:89], v[36:39]// 000000004F0C: D3E10024 1C92B1A0
	buffer_load_dword v19, s[20:23], 0 offen offset:640 lds    // 000000004F14: E0511280 80050013
	s_add_u32 m0, 0x300, s34                                   // 000000004F1C: 807C22FF 00000300
	v_mfma_f32_16x16x16_bf16 v[36:39], a[162:163], a[90:91], v[36:39]// 000000004F24: D3E10024 1C92B5A2
	v_mfma_f32_16x16x16_bf16 v[36:39], a[164:165], a[92:93], v[36:39]// 000000004F2C: D3E10024 1C92B9A4
	buffer_load_dword v18, s[20:23], 0 offen offset:768 lds    // 000000004F34: E0511300 80050012
	s_add_u32 m0, 0x300, s35                                   // 000000004F3C: 807C23FF 00000300
	v_mfma_f32_16x16x16_bf16 v[36:39], a[166:167], a[94:95], v[36:39]// 000000004F44: D3E10024 1C92BDA6
	v_mfma_f32_16x16x16_bf16 v[36:39], a[168:169], a[96:97], v[36:39]// 000000004F4C: D3E10024 1C92C1A8
	buffer_load_dword v19, s[20:23], 0 offen offset:768 lds    // 000000004F54: E0511300 80050013
	s_add_u32 m0, 0x380, s34                                   // 000000004F5C: 807C22FF 00000380
	v_mfma_f32_16x16x16_bf16 v[36:39], a[170:171], a[98:99], v[36:39]// 000000004F64: D3E10024 1C92C5AA
	v_mfma_f32_16x16x16_bf16 v[36:39], a[172:173], a[100:101], v[36:39]// 000000004F6C: D3E10024 1C92C9AC
	s_waitcnt lgkmcnt(0)                                       // 000000004F74: BF8CC07F
	v_max3_f32 v24, v20, v21, v24                              // 000000004F78: D1D30018 04622B14
	v_max3_f32 v24, v22, v23, v24                              // 000000004F80: D1D30018 04622F16
	v_mfma_f32_16x16x16_bf16 v[36:39], a[174:175], a[102:103], v[36:39]// 000000004F88: D3E10024 1C92CDAE
	v_mfma_f32_16x16x16_bf16 v[36:39], a[176:177], a[104:105], v[36:39]// 000000004F90: D3E10024 1C92D1B0
	buffer_load_dword v18, s[20:23], 0 offen offset:896 lds    // 000000004F98: E0511380 80050012
	s_add_u32 m0, 0x380, s35                                   // 000000004FA0: 807C23FF 00000380
	v_mfma_f32_16x16x16_bf16 v[36:39], a[178:179], a[106:107], v[36:39]// 000000004FA8: D3E10024 1C92D5B2
	v_mfma_f32_16x16x16_bf16 v[36:39], a[180:181], a[108:109], v[36:39]// 000000004FB0: D3E10024 1C92D9B4
	buffer_load_dword v19, s[20:23], 0 offen offset:896 lds    // 000000004FB8: E0511380 80050013
	s_add_u32 m0, 0x400, s34                                   // 000000004FC0: 807C22FF 00000400
	v_mfma_f32_16x16x16_bf16 v[36:39], a[182:183], a[110:111], v[36:39]// 000000004FC8: D3E10024 1C92DDB6
	v_mfma_f32_16x16x16_bf16 v[36:39], a[184:185], a[112:113], v[36:39]// 000000004FD0: D3E10024 1C92E1B8
	buffer_load_dword v18, s[20:23], 0 offen offset:1024 lds   // 000000004FD8: E0511400 80050012
	s_add_u32 m0, 0x400, s35                                   // 000000004FE0: 807C23FF 00000400
	v_mfma_f32_16x16x16_bf16 v[36:39], a[186:187], a[114:115], v[36:39]// 000000004FE8: D3E10024 1C92E5BA
	ds_read_b128 a[144:147], v7 offset:37120                   // 000000004FF0: DBFE9100 90000007
	ds_read_b128 a[148:151], v7 offset:38144                   // 000000004FF8: DBFE9500 94000007
	v_mfma_f32_16x16x16_bf16 v[36:39], a[188:189], a[116:117], v[36:39]// 000000005000: D3E10024 1C92E9BC
	v_mfma_f32_16x16x16_bf16 v[36:39], a[190:191], a[118:119], v[36:39]// 000000005008: D3E10024 1C92EDBE
	v_mfma_f32_16x16x16_bf16 v[36:39], a[192:193], a[120:121], v[36:39]// 000000005010: D3E10024 1C92F1C0
	buffer_load_dword v19, s[20:23], 0 offen offset:1024 lds   // 000000005018: E0511400 80050013
	s_add_u32 m0, 0x480, s34                                   // 000000005020: 807C22FF 00000480
	v_mfma_f32_16x16x16_bf16 v[36:39], a[194:195], a[122:123], v[36:39]// 000000005028: D3E10024 1C92F5C2
	ds_read_b128 a[152:155], v7 offset:39168                   // 000000005030: DBFE9900 98000007
	ds_read_b128 a[156:159], v7 offset:40192                   // 000000005038: DBFE9D00 9C000007
	v_mfma_f32_16x16x16_bf16 v[36:39], a[196:197], a[124:125], v[36:39]// 000000005040: D3E10024 1C92F9C4
	v_mfma_f32_16x16x16_bf16 v[36:39], a[198:199], a[126:127], v[36:39]// 000000005048: D3E10024 1C92FDC6
	v_mfma_f32_16x16x16_bf16 v[36:39], a[200:201], a[128:129], v[36:39]// 000000005050: D3E10024 1C9301C8
	v_mfma_f32_16x16x16_bf16 v[36:39], a[202:203], a[130:131], v[36:39]// 000000005058: D3E10024 1C9305CA
	ds_read_b128 a[160:163], v7 offset:41216                   // 000000005060: DBFEA100 A0000007
	ds_read_b128 a[164:167], v7 offset:42240                   // 000000005068: DBFEA500 A4000007
	v_mfma_f32_16x16x16_bf16 v[36:39], a[204:205], a[132:133], v[36:39]// 000000005070: D3E10024 1C9309CC
	v_mfma_f32_16x16x16_bf16 v[36:39], a[206:207], a[134:135], v[36:39]// 000000005078: D3E10024 1C930DCE
	v_mfma_f32_16x16x16_bf16 v[36:39], a[208:209], a[136:137], v[36:39]// 000000005080: D3E10024 1C9311D0
	v_mfma_f32_16x16x16_bf16 v[36:39], a[210:211], a[138:139], v[36:39]// 000000005088: D3E10024 1C9315D2
	ds_read_b128 a[168:171], v7 offset:43264                   // 000000005090: DBFEA900 A8000007
	ds_read_b128 a[172:175], v7 offset:44288                   // 000000005098: DBFEAD00 AC000007
	v_mfma_f32_16x16x16_bf16 v[36:39], a[212:213], a[140:141], v[36:39]// 0000000050A0: D3E10024 1C9319D4
	v_mfma_f32_16x16x16_bf16 v[36:39], a[214:215], a[142:143], v[36:39]// 0000000050A8: D3E10024 1C931DD6
	v_mov_b32_e32 v25, 0xff7fffff                              // 0000000050B0: 7E3202FF FF7FFFFF
	v_cmp_eq_u32_e64 s[38:39], v25, v12                        // 0000000050B8: D0CA0026 00021919
	v_max_f32_e32 v20, v24, v12                                // 0000000050C0: 16281918
	v_sub_f32_e32 v16, v12, v20                                // 0000000050C4: 0420290C
	v_cndmask_b32_e64 v16, v16, 0, s[38:39]                    // 0000000050C8: D1000010 00990110
	v_mov_b32_e32 v12, v20                                     // 0000000050D0: 7E180314
	v_mul_f32_e32 v21, s5, v20                                 // 0000000050D4: 0A2A2805
	v_mul_f32_e32 v16, s5, v16                                 // 0000000050D8: 0A202005
	v_exp_f32_e32 v16, v16                                     // 0000000050DC: 7E204110
	v_fma_f32 v32, v32, s5, -v21                               // 0000000050E0: D1CB0020 84540B20
	v_fma_f32 v33, v33, s5, -v21                               // 0000000050E8: D1CB0021 84540B21
	v_fma_f32 v34, v34, s5, -v21                               // 0000000050F0: D1CB0022 84540B22
	v_fma_f32 v35, v35, s5, -v21                               // 0000000050F8: D1CB0023 84540B23
	v_exp_f32_e32 v32, v32                                     // 000000005100: 7E404120
	v_exp_f32_e32 v33, v33                                     // 000000005104: 7E424121
	v_exp_f32_e32 v34, v34                                     // 000000005108: 7E444122
	v_exp_f32_e32 v35, v35                                     // 00000000510C: 7E464123
	v_mul_f32_e32 v14, v16, v14                                // 000000005110: 0A1C1D10
	v_mov_b32_e32 v22, v32                                     // 000000005114: 7E2C0320
	v_add_f32_e32 v22, v33, v22                                // 000000005118: 022C2D21
	v_add_f32_e32 v22, v34, v22                                // 00000000511C: 022C2D22
	v_add_f32_e32 v22, v35, v22                                // 000000005120: 022C2D23
	v_add_f32_e32 v14, v22, v14                                // 000000005124: 021C1D16
	v_mov_b32_e32 v29, 0xffff0000                              // 000000005128: 7E3A02FF FFFF0000
	v_mov_b32_e32 v30, 0x7fff0000                              // 000000005130: 7E3C02FF 7FFF0000
	v_mov_b32_e32 v31, 0x7fff                                  // 000000005138: 7E3E02FF 00007FFF
	v_cmp_u_f32_e64 s[38:39], v32, v32                         // 000000005140: D0480026 00024120
	v_add3_u32 v28, v32, v31, 1                                // 000000005148: D1FF001C 02063F20
	v_cndmask_b32_e64 v20, v28, v30, s[38:39]                  // 000000005150: D1000014 009A3D1C
	v_cmp_u_f32_e64 s[38:39], v33, v33                         // 000000005158: D0480026 00024321
	v_add3_u32 v28, v33, v31, 1                                // 000000005160: D1FF001C 02063F21
	v_cndmask_b32_e64 v21, v28, v30, s[38:39]                  // 000000005168: D1000015 009A3D1C
	v_perm_b32 v32, v21, v20, s52                              // 000000005170: D1ED0020 00D22915
	v_cmp_u_f32_e64 s[38:39], v34, v34                         // 000000005178: D0480026 00024522
	v_add3_u32 v28, v34, v31, 1                                // 000000005180: D1FF001C 02063F22
	v_cndmask_b32_e64 v20, v28, v30, s[38:39]                  // 000000005188: D1000014 009A3D1C
	v_cmp_u_f32_e64 s[38:39], v35, v35                         // 000000005190: D0480026 00024723
	v_add3_u32 v28, v35, v31, 1                                // 000000005198: D1FF001C 02063F23
	v_cndmask_b32_e64 v21, v28, v30, s[38:39]                  // 0000000051A0: D1000015 009A3D1C
	v_perm_b32 v33, v21, v20, s52                              // 0000000051A8: D1ED0021 00D22915
	s_nop 2                                                    // 0000000051B0: BF800002
	v_mul_u32_u24_dpp v18, v11, v9 row_newbcast:0 row_mask:0xf bank_mask:0xf// 0000000051B4: 102412FA FF01500B
	v_mul_u32_u24_dpp v19, v11, v9 row_newbcast:8 row_mask:0xf bank_mask:0xf// 0000000051BC: 102612FA FF01580B
	v_add_u32_e32 v18, v18, v1                                 // 0000000051C4: 68240312
	v_add_u32_e32 v19, v19, v1                                 // 0000000051C8: 68260313
	s_mov_b32 m0, s36                                          // 0000000051CC: BEFC0024
	v_mov_b32_e32 v22, v16                                     // 0000000051D0: 7E2C0310
	v_mov_b32_e32 v23, v16                                     // 0000000051D4: 7E2E0310
	v_pk_mul_f32 v[40:41], v[22:23], v[40:41]                  // 0000000051D8: D3B14028 18025116
	v_pk_mul_f32 v[42:43], v[22:23], v[42:43]                  // 0000000051E0: D3B1402A 18025516
	v_pk_mul_f32 v[44:45], v[22:23], v[44:45]                  // 0000000051E8: D3B1402C 18025916
	v_pk_mul_f32 v[46:47], v[22:23], v[46:47]                  // 0000000051F0: D3B1402E 18025D16
	v_pk_mul_f32 v[48:49], v[22:23], v[48:49]                  // 0000000051F8: D3B14030 18026116
	v_pk_mul_f32 v[50:51], v[22:23], v[50:51]                  // 000000005200: D3B14032 18026516
	v_pk_mul_f32 v[52:53], v[22:23], v[52:53]                  // 000000005208: D3B14034 18026916
	v_pk_mul_f32 v[54:55], v[22:23], v[54:55]                  // 000000005210: D3B14036 18026D16
	v_pk_mul_f32 v[56:57], v[22:23], v[56:57]                  // 000000005218: D3B14038 18027116
	v_pk_mul_f32 v[58:59], v[22:23], v[58:59]                  // 000000005220: D3B1403A 18027516
	v_pk_mul_f32 v[60:61], v[22:23], v[60:61]                  // 000000005228: D3B1403C 18027916
	v_pk_mul_f32 v[62:63], v[22:23], v[62:63]                  // 000000005230: D3B1403E 18027D16
	v_pk_mul_f32 v[64:65], v[22:23], v[64:65]                  // 000000005238: D3B14040 18028116
	v_pk_mul_f32 v[66:67], v[22:23], v[66:67]                  // 000000005240: D3B14042 18028516
	v_pk_mul_f32 v[68:69], v[22:23], v[68:69]                  // 000000005248: D3B14044 18028916
	v_pk_mul_f32 v[70:71], v[22:23], v[70:71]                  // 000000005250: D3B14046 18028D16
	v_pk_mul_f32 v[72:73], v[22:23], v[72:73]                  // 000000005258: D3B14048 18029116
	v_pk_mul_f32 v[74:75], v[22:23], v[74:75]                  // 000000005260: D3B1404A 18029516
	v_pk_mul_f32 v[76:77], v[22:23], v[76:77]                  // 000000005268: D3B1404C 18029916
	v_pk_mul_f32 v[78:79], v[22:23], v[78:79]                  // 000000005270: D3B1404E 18029D16
	v_pk_mul_f32 v[80:81], v[22:23], v[80:81]                  // 000000005278: D3B14050 1802A116
	v_pk_mul_f32 v[82:83], v[22:23], v[82:83]                  // 000000005280: D3B14052 1802A516
	v_pk_mul_f32 v[84:85], v[22:23], v[84:85]                  // 000000005288: D3B14054 1802A916
	v_pk_mul_f32 v[86:87], v[22:23], v[86:87]                  // 000000005290: D3B14056 1802AD16
	v_pk_mul_f32 v[88:89], v[22:23], v[88:89]                  // 000000005298: D3B14058 1802B116
	v_pk_mul_f32 v[90:91], v[22:23], v[90:91]                  // 0000000052A0: D3B1405A 1802B516
	v_pk_mul_f32 v[92:93], v[22:23], v[92:93]                  // 0000000052A8: D3B1405C 1802B916
	v_pk_mul_f32 v[94:95], v[22:23], v[94:95]                  // 0000000052B0: D3B1405E 1802BD16
	v_pk_mul_f32 v[96:97], v[22:23], v[96:97]                  // 0000000052B8: D3B14060 1802C116
	v_pk_mul_f32 v[98:99], v[22:23], v[98:99]                  // 0000000052C0: D3B14062 1802C516
	v_pk_mul_f32 v[100:101], v[22:23], v[100:101]              // 0000000052C8: D3B14064 1802C916
	v_pk_mul_f32 v[102:103], v[22:23], v[102:103]              // 0000000052D0: D3B14066 1802CD16
	v_pk_mul_f32 v[104:105], v[22:23], v[104:105]              // 0000000052D8: D3B14068 1802D116
	v_pk_mul_f32 v[106:107], v[22:23], v[106:107]              // 0000000052E0: D3B1406A 1802D516
	v_pk_mul_f32 v[108:109], v[22:23], v[108:109]              // 0000000052E8: D3B1406C 1802D916
	v_pk_mul_f32 v[110:111], v[22:23], v[110:111]              // 0000000052F0: D3B1406E 1802DD16
	v_pk_mul_f32 v[112:113], v[22:23], v[112:113]              // 0000000052F8: D3B14070 1802E116
	v_pk_mul_f32 v[114:115], v[22:23], v[114:115]              // 000000005300: D3B14072 1802E516
	v_pk_mul_f32 v[116:117], v[22:23], v[116:117]              // 000000005308: D3B14074 1802E916
	v_pk_mul_f32 v[118:119], v[22:23], v[118:119]              // 000000005310: D3B14076 1802ED16
	v_pk_mul_f32 v[120:121], v[22:23], v[120:121]              // 000000005318: D3B14078 1802F116
	v_pk_mul_f32 v[122:123], v[22:23], v[122:123]              // 000000005320: D3B1407A 1802F516
	v_pk_mul_f32 v[124:125], v[22:23], v[124:125]              // 000000005328: D3B1407C 1802F916
	v_pk_mul_f32 v[126:127], v[22:23], v[126:127]              // 000000005330: D3B1407E 1802FD16
	v_pk_mul_f32 v[128:129], v[22:23], v[128:129]              // 000000005338: D3B14080 18030116
	v_pk_mul_f32 v[130:131], v[22:23], v[130:131]              // 000000005340: D3B14082 18030516
	v_pk_mul_f32 v[132:133], v[22:23], v[132:133]              // 000000005348: D3B14084 18030916
	v_pk_mul_f32 v[134:135], v[22:23], v[134:135]              // 000000005350: D3B14086 18030D16
	v_pk_mul_f32 v[136:137], v[22:23], v[136:137]              // 000000005358: D3B14088 18031116
	v_pk_mul_f32 v[138:139], v[22:23], v[138:139]              // 000000005360: D3B1408A 18031516
	v_pk_mul_f32 v[140:141], v[22:23], v[140:141]              // 000000005368: D3B1408C 18031916
	v_pk_mul_f32 v[142:143], v[22:23], v[142:143]              // 000000005370: D3B1408E 18031D16
	v_pk_mul_f32 v[144:145], v[22:23], v[144:145]              // 000000005378: D3B14090 18032116
	v_pk_mul_f32 v[146:147], v[22:23], v[146:147]              // 000000005380: D3B14092 18032516
	v_accvgpr_read_b32 v20, a216                               // 000000005388: D3D84014 180001D8
	v_accvgpr_read_b32 v21, a217                               // 000000005390: D3D84015 180001D9
	v_pk_mul_f32 v[20:21], v[22:23], v[20:21]                  // 000000005398: D3B14014 18022916
	v_accvgpr_write_b32 a216, v20                              // 0000000053A0: D3D940D8 18000114
	v_accvgpr_write_b32 a217, v21                              // 0000000053A8: D3D940D9 18000115
	v_accvgpr_read_b32 v20, a218                               // 0000000053B0: D3D84014 180001DA
	v_accvgpr_read_b32 v21, a219                               // 0000000053B8: D3D84015 180001DB
	v_pk_mul_f32 v[20:21], v[22:23], v[20:21]                  // 0000000053C0: D3B14014 18022916
	v_accvgpr_write_b32 a218, v20                              // 0000000053C8: D3D940DA 18000114
	v_accvgpr_write_b32 a219, v21                              // 0000000053D0: D3D940DB 18000115
	v_accvgpr_read_b32 v20, a220                               // 0000000053D8: D3D84014 180001DC
	v_accvgpr_read_b32 v21, a221                               // 0000000053E0: D3D84015 180001DD
	v_pk_mul_f32 v[20:21], v[22:23], v[20:21]                  // 0000000053E8: D3B14014 18022916
	v_accvgpr_write_b32 a220, v20                              // 0000000053F0: D3D940DC 18000114
	v_accvgpr_write_b32 a221, v21                              // 0000000053F8: D3D940DD 18000115
	v_accvgpr_read_b32 v20, a222                               // 000000005400: D3D84014 180001DE
	v_accvgpr_read_b32 v21, a223                               // 000000005408: D3D84015 180001DF
	v_pk_mul_f32 v[20:21], v[22:23], v[20:21]                  // 000000005410: D3B14014 18022916
	v_accvgpr_write_b32 a222, v20                              // 000000005418: D3D940DE 18000114
	v_accvgpr_write_b32 a223, v21                              // 000000005420: D3D940DF 18000115
	v_accvgpr_read_b32 v20, a224                               // 000000005428: D3D84014 180001E0
	v_accvgpr_read_b32 v21, a225                               // 000000005430: D3D84015 180001E1
	v_pk_mul_f32 v[20:21], v[22:23], v[20:21]                  // 000000005438: D3B14014 18022916
	v_accvgpr_write_b32 a224, v20                              // 000000005440: D3D940E0 18000114
	v_accvgpr_write_b32 a225, v21                              // 000000005448: D3D940E1 18000115
	v_accvgpr_read_b32 v20, a226                               // 000000005450: D3D84014 180001E2
	v_accvgpr_read_b32 v21, a227                               // 000000005458: D3D84015 180001E3
	v_pk_mul_f32 v[20:21], v[22:23], v[20:21]                  // 000000005460: D3B14014 18022916
	v_accvgpr_write_b32 a226, v20                              // 000000005468: D3D940E2 18000114
	v_accvgpr_write_b32 a227, v21                              // 000000005470: D3D940E3 18000115
	v_accvgpr_read_b32 v20, a228                               // 000000005478: D3D84014 180001E4
	v_accvgpr_read_b32 v21, a229                               // 000000005480: D3D84015 180001E5
	v_pk_mul_f32 v[20:21], v[22:23], v[20:21]                  // 000000005488: D3B14014 18022916
	v_accvgpr_write_b32 a228, v20                              // 000000005490: D3D940E4 18000114
	v_accvgpr_write_b32 a229, v21                              // 000000005498: D3D940E5 18000115
	v_accvgpr_read_b32 v20, a230                               // 0000000054A0: D3D84014 180001E6
	v_accvgpr_read_b32 v21, a231                               // 0000000054A8: D3D84015 180001E7
	v_pk_mul_f32 v[20:21], v[22:23], v[20:21]                  // 0000000054B0: D3B14014 18022916
	v_accvgpr_write_b32 a230, v20                              // 0000000054B8: D3D940E6 18000114
	v_accvgpr_write_b32 a231, v21                              // 0000000054C0: D3D940E7 18000115
	v_accvgpr_read_b32 v20, a232                               // 0000000054C8: D3D84014 180001E8
	v_accvgpr_read_b32 v21, a233                               // 0000000054D0: D3D84015 180001E9
	v_pk_mul_f32 v[20:21], v[22:23], v[20:21]                  // 0000000054D8: D3B14014 18022916
	v_accvgpr_write_b32 a232, v20                              // 0000000054E0: D3D940E8 18000114
	v_accvgpr_write_b32 a233, v21                              // 0000000054E8: D3D940E9 18000115
	v_accvgpr_read_b32 v20, a234                               // 0000000054F0: D3D84014 180001EA
	v_accvgpr_read_b32 v21, a235                               // 0000000054F8: D3D84015 180001EB
	v_pk_mul_f32 v[20:21], v[22:23], v[20:21]                  // 000000005500: D3B14014 18022916
	v_accvgpr_write_b32 a234, v20                              // 000000005508: D3D940EA 18000114
	v_accvgpr_write_b32 a235, v21                              // 000000005510: D3D940EB 18000115
	s_waitcnt lgkmcnt(0)                                       // 000000005518: BF8CC07F
	v_mfma_f32_16x16x16_bf16 v[40:43], a[144:145], v[32:33], v[40:43]// 00000000551C: D3E10028 0CA24190
	v_mfma_f32_16x16x16_bf16 v[44:47], a[146:147], v[32:33], v[44:47]// 000000005524: D3E1002C 0CB24192
	ds_read_b128 a[176:179], v7 offset:45312                   // 00000000552C: DBFEB100 B0000007
	ds_read_b128 a[180:183], v7 offset:46336                   // 000000005534: DBFEB500 B4000007
	v_mfma_f32_16x16x16_bf16 v[48:51], a[148:149], v[32:33], v[48:51]// 00000000553C: D3E10030 0CC24194
	v_mfma_f32_16x16x16_bf16 v[52:55], a[150:151], v[32:33], v[52:55]// 000000005544: D3E10034 0CD24196
	v_mfma_f32_16x16x16_bf16 v[56:59], a[152:153], v[32:33], v[56:59]// 00000000554C: D3E10038 0CE24198
	v_mfma_f32_16x16x16_bf16 v[60:63], a[154:155], v[32:33], v[60:63]// 000000005554: D3E1003C 0CF2419A
	ds_read_b128 a[184:187], v7 offset:47360                   // 00000000555C: DBFEB900 B8000007
	ds_read_b128 a[188:191], v7 offset:48384                   // 000000005564: DBFEBD00 BC000007
	v_mfma_f32_16x16x16_bf16 v[64:67], a[156:157], v[32:33], v[64:67]// 00000000556C: D3E10040 0D02419C
	v_mfma_f32_16x16x16_bf16 v[68:71], a[158:159], v[32:33], v[68:71]// 000000005574: D3E10044 0D12419E
	v_mfma_f32_16x16x16_bf16 v[72:75], a[160:161], v[32:33], v[72:75]// 00000000557C: D3E10048 0D2241A0
	v_mfma_f32_16x16x16_bf16 v[76:79], a[162:163], v[32:33], v[76:79]// 000000005584: D3E1004C 0D3241A2
	ds_read_b128 a[192:195], v7 offset:49408                   // 00000000558C: DBFEC100 C0000007
	ds_read_b128 a[196:199], v7 offset:50432                   // 000000005594: DBFEC500 C4000007
	v_mfma_f32_16x16x16_bf16 v[80:83], a[164:165], v[32:33], v[80:83]// 00000000559C: D3E10050 0D4241A4
	v_mfma_f32_16x16x16_bf16 v[84:87], a[166:167], v[32:33], v[84:87]// 0000000055A4: D3E10054 0D5241A6
	v_mfma_f32_16x16x16_bf16 v[88:91], a[168:169], v[32:33], v[88:91]// 0000000055AC: D3E10058 0D6241A8
	v_mfma_f32_16x16x16_bf16 v[92:95], a[170:171], v[32:33], v[92:95]// 0000000055B4: D3E1005C 0D7241AA
	ds_read_b128 a[200:203], v7 offset:51456                   // 0000000055BC: DBFEC900 C8000007
	ds_read_b128 a[204:207], v7 offset:52480                   // 0000000055C4: DBFECD00 CC000007
	v_mfma_f32_16x16x16_bf16 v[96:99], a[172:173], v[32:33], v[96:99]// 0000000055CC: D3E10060 0D8241AC
	v_mfma_f32_16x16x16_bf16 v[100:103], a[174:175], v[32:33], v[100:103]// 0000000055D4: D3E10064 0D9241AE
	s_waitcnt lgkmcnt(4)                                       // 0000000055DC: BF8CC47F
	v_mfma_f32_16x16x16_bf16 v[104:107], a[176:177], v[32:33], v[104:107]// 0000000055E0: D3E10068 0DA241B0
	v_max3_f32 v24, v36, v37, v36                              // 0000000055E8: D1D30018 04924B24
	v_max3_f32 v24, v38, v39, v24                              // 0000000055F0: D1D30018 04624F26
	ds_write_b32 v3, v24 offset:54528                          // 0000000055F8: D81AD500 00001803
	v_mfma_f32_16x16x16_bf16 v[108:111], a[178:179], v[32:33], v[108:111]// 000000005600: D3E1006C 0DB241B2
	v_mfma_f32_16x16x16_bf16 v[112:115], a[180:181], v[32:33], v[112:115]// 000000005608: D3E10070 0DC241B4
	v_mfma_f32_16x16x16_bf16 v[116:119], a[182:183], v[32:33], v[116:119]// 000000005610: D3E10074 0DD241B6
	v_mfma_f32_16x16x16_bf16 v[120:123], a[184:185], v[32:33], v[120:123]// 000000005618: D3E10078 0DE241B8
	v_mfma_f32_16x16x16_bf16 v[124:127], a[186:187], v[32:33], v[124:127]// 000000005620: D3E1007C 0DF241BA
	v_mfma_f32_16x16x16_bf16 v[128:131], a[188:189], v[32:33], v[128:131]// 000000005628: D3E10080 0E0241BC
	v_mfma_f32_16x16x16_bf16 v[132:135], a[190:191], v[32:33], v[132:135]// 000000005630: D3E10084 0E1241BE
	s_waitcnt lgkmcnt(0)                                       // 000000005638: BF8CC07F
	v_mfma_f32_16x16x16_bf16 v[136:139], a[192:193], v[32:33], v[136:139]// 00000000563C: D3E10088 0E2241C0
	s_waitcnt lgkmcnt(0)                                       // 000000005644: BF8CC07F
	ds_read_b32 v20, v2 offset:54528                           // 000000005648: D86CD500 14000002
	ds_read_b32 v21, v2 offset:54592                           // 000000005650: D86CD540 15000002
	v_mfma_f32_16x16x16_bf16 v[140:143], a[194:195], v[32:33], v[140:143]// 000000005658: D3E1008C 0E3241C2
	ds_read_b32 v22, v2 offset:54656                           // 000000005660: D86CD580 16000002
	ds_read_b32 v23, v2 offset:54720                           // 000000005668: D86CD5C0 17000002
	v_mfma_f32_16x16x16_bf16 v[144:147], a[196:197], v[32:33], v[144:147]// 000000005670: D3E10090 0E4241C4
	v_mfma_f32_16x16x16_bf16 a[216:219], a[198:199], v[32:33], a[216:219]// 000000005678: D3E180D8 0F6241C6
	v_mfma_f32_16x16x16_bf16 a[220:223], a[200:201], v[32:33], a[220:223]// 000000005680: D3E180DC 0F7241C8
	v_mfma_f32_16x16x16_bf16 a[224:227], a[202:203], v[32:33], a[224:227]// 000000005688: D3E180E0 0F8241CA
	v_mfma_f32_16x16x16_bf16 a[228:231], a[204:205], v[32:33], a[228:231]// 000000005690: D3E180E4 0F9241CC
	v_mfma_f32_16x16x16_bf16 a[232:235], a[206:207], v[32:33], a[232:235]// 000000005698: D3E180E8 0FA241CE
	s_waitcnt lgkmcnt(0)                                       // 0000000056A0: BF8CC07F
	v_max3_f32 v24, v20, v21, v24                              // 0000000056A4: D1D30018 04622B14
	v_max3_f32 v24, v22, v23, v24                              // 0000000056AC: D1D30018 04622F16
	v_mov_b32_e32 v25, 0xff7fffff                              // 0000000056B4: 7E3202FF FF7FFFFF
	v_cmp_eq_u32_e64 s[38:39], v25, v13                        // 0000000056BC: D0CA0026 00021B19
	v_max_f32_e32 v20, v24, v13                                // 0000000056C4: 16281B18
	v_sub_f32_e32 v17, v13, v20                                // 0000000056C8: 0422290D
	v_cndmask_b32_e64 v17, v17, 0, s[38:39]                    // 0000000056CC: D1000011 00990111
	v_mov_b32_e32 v13, v20                                     // 0000000056D4: 7E1A0314
	v_mul_f32_e32 v21, s5, v20                                 // 0000000056D8: 0A2A2805
	v_mul_f32_e32 v17, s5, v17                                 // 0000000056DC: 0A222205
	v_exp_f32_e32 v17, v17                                     // 0000000056E0: 7E224111
	v_fma_f32 v36, v36, s5, -v21                               // 0000000056E4: D1CB0024 84540B24
	v_fma_f32 v37, v37, s5, -v21                               // 0000000056EC: D1CB0025 84540B25
	v_fma_f32 v38, v38, s5, -v21                               // 0000000056F4: D1CB0026 84540B26
	v_fma_f32 v39, v39, s5, -v21                               // 0000000056FC: D1CB0027 84540B27
	v_exp_f32_e32 v36, v36                                     // 000000005704: 7E484124
	v_exp_f32_e32 v37, v37                                     // 000000005708: 7E4A4125
	v_exp_f32_e32 v38, v38                                     // 00000000570C: 7E4C4126
	v_exp_f32_e32 v39, v39                                     // 000000005710: 7E4E4127
	v_mul_f32_e32 v15, v17, v15                                // 000000005714: 0A1E1F11
	v_mov_b32_e32 v22, v36                                     // 000000005718: 7E2C0324
	v_add_f32_e32 v22, v37, v22                                // 00000000571C: 022C2D25
	v_add_f32_e32 v22, v38, v22                                // 000000005720: 022C2D26
	v_add_f32_e32 v22, v39, v22                                // 000000005724: 022C2D27
	v_add_f32_e32 v15, v22, v15                                // 000000005728: 021E1F16
	v_mov_b32_e32 v29, 0xffff0000                              // 00000000572C: 7E3A02FF FFFF0000
	v_mov_b32_e32 v30, 0x7fff0000                              // 000000005734: 7E3C02FF 7FFF0000
	v_mov_b32_e32 v31, 0x7fff                                  // 00000000573C: 7E3E02FF 00007FFF
	v_cmp_u_f32_e64 s[38:39], v36, v36                         // 000000005744: D0480026 00024924
	v_add3_u32 v28, v36, v31, 1                                // 00000000574C: D1FF001C 02063F24
	v_cndmask_b32_e64 v20, v28, v30, s[38:39]                  // 000000005754: D1000014 009A3D1C
	v_cmp_u_f32_e64 s[38:39], v37, v37                         // 00000000575C: D0480026 00024B25
	v_add3_u32 v28, v37, v31, 1                                // 000000005764: D1FF001C 02063F25
	v_cndmask_b32_e64 v21, v28, v30, s[38:39]                  // 00000000576C: D1000015 009A3D1C
	v_perm_b32 v36, v21, v20, s52                              // 000000005774: D1ED0024 00D22915
	v_cmp_u_f32_e64 s[38:39], v38, v38                         // 00000000577C: D0480026 00024D26
	v_add3_u32 v28, v38, v31, 1                                // 000000005784: D1FF001C 02063F26
	v_cndmask_b32_e64 v20, v28, v30, s[38:39]                  // 00000000578C: D1000014 009A3D1C
	v_cmp_u_f32_e64 s[38:39], v39, v39                         // 000000005794: D0480026 00024F27
	v_add3_u32 v28, v39, v31, 1                                // 00000000579C: D1FF001C 02063F27
	v_cndmask_b32_e64 v21, v28, v30, s[38:39]                  // 0000000057A4: D1000015 009A3D1C
	v_perm_b32 v37, v21, v20, s52                              // 0000000057AC: D1ED0025 00D22915
	s_nop 2                                                    // 0000000057B4: BF800002
	v_mov_b32_e32 v22, v17                                     // 0000000057B8: 7E2C0311
	v_mov_b32_e32 v23, v17                                     // 0000000057BC: 7E2E0311
	v_pk_mul_f32 v[148:149], v[22:23], v[148:149]              // 0000000057C0: D3B14094 18032916
	v_pk_mul_f32 v[150:151], v[22:23], v[150:151]              // 0000000057C8: D3B14096 18032D16
	v_pk_mul_f32 v[152:153], v[22:23], v[152:153]              // 0000000057D0: D3B14098 18033116
	v_pk_mul_f32 v[154:155], v[22:23], v[154:155]              // 0000000057D8: D3B1409A 18033516
	v_pk_mul_f32 v[156:157], v[22:23], v[156:157]              // 0000000057E0: D3B1409C 18033916
	v_pk_mul_f32 v[158:159], v[22:23], v[158:159]              // 0000000057E8: D3B1409E 18033D16
	v_pk_mul_f32 v[160:161], v[22:23], v[160:161]              // 0000000057F0: D3B140A0 18034116
	v_pk_mul_f32 v[162:163], v[22:23], v[162:163]              // 0000000057F8: D3B140A2 18034516
	v_pk_mul_f32 v[164:165], v[22:23], v[164:165]              // 000000005800: D3B140A4 18034916
	v_pk_mul_f32 v[166:167], v[22:23], v[166:167]              // 000000005808: D3B140A6 18034D16
	v_pk_mul_f32 v[168:169], v[22:23], v[168:169]              // 000000005810: D3B140A8 18035116
	v_pk_mul_f32 v[170:171], v[22:23], v[170:171]              // 000000005818: D3B140AA 18035516
	v_pk_mul_f32 v[172:173], v[22:23], v[172:173]              // 000000005820: D3B140AC 18035916
	v_pk_mul_f32 v[174:175], v[22:23], v[174:175]              // 000000005828: D3B140AE 18035D16
	v_pk_mul_f32 v[176:177], v[22:23], v[176:177]              // 000000005830: D3B140B0 18036116
	v_pk_mul_f32 v[178:179], v[22:23], v[178:179]              // 000000005838: D3B140B2 18036516
	v_pk_mul_f32 v[180:181], v[22:23], v[180:181]              // 000000005840: D3B140B4 18036916
	v_pk_mul_f32 v[182:183], v[22:23], v[182:183]              // 000000005848: D3B140B6 18036D16
	v_pk_mul_f32 v[184:185], v[22:23], v[184:185]              // 000000005850: D3B140B8 18037116
	v_pk_mul_f32 v[186:187], v[22:23], v[186:187]              // 000000005858: D3B140BA 18037516
	v_pk_mul_f32 v[188:189], v[22:23], v[188:189]              // 000000005860: D3B140BC 18037916
	v_pk_mul_f32 v[190:191], v[22:23], v[190:191]              // 000000005868: D3B140BE 18037D16
	v_pk_mul_f32 v[192:193], v[22:23], v[192:193]              // 000000005870: D3B140C0 18038116
	v_pk_mul_f32 v[194:195], v[22:23], v[194:195]              // 000000005878: D3B140C2 18038516
	v_pk_mul_f32 v[196:197], v[22:23], v[196:197]              // 000000005880: D3B140C4 18038916
	v_pk_mul_f32 v[198:199], v[22:23], v[198:199]              // 000000005888: D3B140C6 18038D16
	v_pk_mul_f32 v[200:201], v[22:23], v[200:201]              // 000000005890: D3B140C8 18039116
	v_pk_mul_f32 v[202:203], v[22:23], v[202:203]              // 000000005898: D3B140CA 18039516
	v_pk_mul_f32 v[204:205], v[22:23], v[204:205]              // 0000000058A0: D3B140CC 18039916
	v_pk_mul_f32 v[206:207], v[22:23], v[206:207]              // 0000000058A8: D3B140CE 18039D16
	v_pk_mul_f32 v[208:209], v[22:23], v[208:209]              // 0000000058B0: D3B140D0 1803A116
	v_pk_mul_f32 v[210:211], v[22:23], v[210:211]              // 0000000058B8: D3B140D2 1803A516
	v_pk_mul_f32 v[212:213], v[22:23], v[212:213]              // 0000000058C0: D3B140D4 1803A916
	v_pk_mul_f32 v[214:215], v[22:23], v[214:215]              // 0000000058C8: D3B140D6 1803AD16
	v_pk_mul_f32 v[216:217], v[22:23], v[216:217]              // 0000000058D0: D3B140D8 1803B116
	v_pk_mul_f32 v[218:219], v[22:23], v[218:219]              // 0000000058D8: D3B140DA 1803B516
	v_pk_mul_f32 v[220:221], v[22:23], v[220:221]              // 0000000058E0: D3B140DC 1803B916
	v_pk_mul_f32 v[222:223], v[22:23], v[222:223]              // 0000000058E8: D3B140DE 1803BD16
	v_pk_mul_f32 v[224:225], v[22:23], v[224:225]              // 0000000058F0: D3B140E0 1803C116
	v_pk_mul_f32 v[226:227], v[22:23], v[226:227]              // 0000000058F8: D3B140E2 1803C516
	v_pk_mul_f32 v[228:229], v[22:23], v[228:229]              // 000000005900: D3B140E4 1803C916
	v_pk_mul_f32 v[230:231], v[22:23], v[230:231]              // 000000005908: D3B140E6 1803CD16
	v_pk_mul_f32 v[232:233], v[22:23], v[232:233]              // 000000005910: D3B140E8 1803D116
	v_pk_mul_f32 v[234:235], v[22:23], v[234:235]              // 000000005918: D3B140EA 1803D516
	v_pk_mul_f32 v[236:237], v[22:23], v[236:237]              // 000000005920: D3B140EC 1803D916
	v_pk_mul_f32 v[238:239], v[22:23], v[238:239]              // 000000005928: D3B140EE 1803DD16
	v_pk_mul_f32 v[240:241], v[22:23], v[240:241]              // 000000005930: D3B140F0 1803E116
	v_pk_mul_f32 v[242:243], v[22:23], v[242:243]              // 000000005938: D3B140F2 1803E516
	v_pk_mul_f32 v[244:245], v[22:23], v[244:245]              // 000000005940: D3B140F4 1803E916
	v_pk_mul_f32 v[246:247], v[22:23], v[246:247]              // 000000005948: D3B140F6 1803ED16
	v_pk_mul_f32 v[248:249], v[22:23], v[248:249]              // 000000005950: D3B140F8 1803F116
	v_pk_mul_f32 v[250:251], v[22:23], v[250:251]              // 000000005958: D3B140FA 1803F516
	v_pk_mul_f32 v[252:253], v[22:23], v[252:253]              // 000000005960: D3B140FC 1803F916
	v_pk_mul_f32 v[254:255], v[22:23], v[254:255]              // 000000005968: D3B140FE 1803FD16
	v_accvgpr_read_b32 v20, a236                               // 000000005970: D3D84014 180001EC
	v_accvgpr_read_b32 v21, a237                               // 000000005978: D3D84015 180001ED
	v_pk_mul_f32 v[20:21], v[22:23], v[20:21]                  // 000000005980: D3B14014 18022916
	v_accvgpr_write_b32 a236, v20                              // 000000005988: D3D940EC 18000114
	v_accvgpr_write_b32 a237, v21                              // 000000005990: D3D940ED 18000115
	v_accvgpr_read_b32 v20, a238                               // 000000005998: D3D84014 180001EE
	v_accvgpr_read_b32 v21, a239                               // 0000000059A0: D3D84015 180001EF
	v_pk_mul_f32 v[20:21], v[22:23], v[20:21]                  // 0000000059A8: D3B14014 18022916
	v_accvgpr_write_b32 a238, v20                              // 0000000059B0: D3D940EE 18000114
	v_accvgpr_write_b32 a239, v21                              // 0000000059B8: D3D940EF 18000115
	v_accvgpr_read_b32 v20, a240                               // 0000000059C0: D3D84014 180001F0
	v_accvgpr_read_b32 v21, a241                               // 0000000059C8: D3D84015 180001F1
	v_pk_mul_f32 v[20:21], v[22:23], v[20:21]                  // 0000000059D0: D3B14014 18022916
	v_accvgpr_write_b32 a240, v20                              // 0000000059D8: D3D940F0 18000114
	v_accvgpr_write_b32 a241, v21                              // 0000000059E0: D3D940F1 18000115
	v_accvgpr_read_b32 v20, a242                               // 0000000059E8: D3D84014 180001F2
	v_accvgpr_read_b32 v21, a243                               // 0000000059F0: D3D84015 180001F3
	v_pk_mul_f32 v[20:21], v[22:23], v[20:21]                  // 0000000059F8: D3B14014 18022916
	v_accvgpr_write_b32 a242, v20                              // 000000005A00: D3D940F2 18000114
	v_accvgpr_write_b32 a243, v21                              // 000000005A08: D3D940F3 18000115
	v_accvgpr_read_b32 v20, a244                               // 000000005A10: D3D84014 180001F4
	v_accvgpr_read_b32 v21, a245                               // 000000005A18: D3D84015 180001F5
	v_pk_mul_f32 v[20:21], v[22:23], v[20:21]                  // 000000005A20: D3B14014 18022916
	v_accvgpr_write_b32 a244, v20                              // 000000005A28: D3D940F4 18000114
	v_accvgpr_write_b32 a245, v21                              // 000000005A30: D3D940F5 18000115
	v_accvgpr_read_b32 v20, a246                               // 000000005A38: D3D84014 180001F6
	v_accvgpr_read_b32 v21, a247                               // 000000005A40: D3D84015 180001F7
	v_pk_mul_f32 v[20:21], v[22:23], v[20:21]                  // 000000005A48: D3B14014 18022916
	v_accvgpr_write_b32 a246, v20                              // 000000005A50: D3D940F6 18000114
	v_accvgpr_write_b32 a247, v21                              // 000000005A58: D3D940F7 18000115
	v_accvgpr_read_b32 v20, a248                               // 000000005A60: D3D84014 180001F8
	v_accvgpr_read_b32 v21, a249                               // 000000005A68: D3D84015 180001F9
	v_pk_mul_f32 v[20:21], v[22:23], v[20:21]                  // 000000005A70: D3B14014 18022916
	v_accvgpr_write_b32 a248, v20                              // 000000005A78: D3D940F8 18000114
	v_accvgpr_write_b32 a249, v21                              // 000000005A80: D3D940F9 18000115
	v_accvgpr_read_b32 v20, a250                               // 000000005A88: D3D84014 180001FA
	v_accvgpr_read_b32 v21, a251                               // 000000005A90: D3D84015 180001FB
	v_pk_mul_f32 v[20:21], v[22:23], v[20:21]                  // 000000005A98: D3B14014 18022916
	v_accvgpr_write_b32 a250, v20                              // 000000005AA0: D3D940FA 18000114
	v_accvgpr_write_b32 a251, v21                              // 000000005AA8: D3D940FB 18000115
	v_accvgpr_read_b32 v20, a252                               // 000000005AB0: D3D84014 180001FC
	v_accvgpr_read_b32 v21, a253                               // 000000005AB8: D3D84015 180001FD
	v_pk_mul_f32 v[20:21], v[22:23], v[20:21]                  // 000000005AC0: D3B14014 18022916
	v_accvgpr_write_b32 a252, v20                              // 000000005AC8: D3D940FC 18000114
	v_accvgpr_write_b32 a253, v21                              // 000000005AD0: D3D940FD 18000115
	v_accvgpr_read_b32 v20, a254                               // 000000005AD8: D3D84014 180001FE
	v_accvgpr_read_b32 v21, a255                               // 000000005AE0: D3D84015 180001FF
	v_pk_mul_f32 v[20:21], v[22:23], v[20:21]                  // 000000005AE8: D3B14014 18022916
	v_accvgpr_write_b32 a254, v20                              // 000000005AF0: D3D940FE 18000114
	v_accvgpr_write_b32 a255, v21                              // 000000005AF8: D3D940FF 18000115
	s_waitcnt vmcnt(18) lgkmcnt(0)                             // 000000005B00: BF8C4072
	s_barrier                                                  // 000000005B04: BF8A0000
	v_mfma_f32_16x16x16_bf16 v[148:151], a[144:145], v[36:37], v[148:151]// 000000005B08: D3E10094 0E524990
	ds_read_b64 v[20:21], v5 offset:18560                      // 000000005B10: D8EC4880 14000005
	ds_read_b64 v[22:23], v5 offset:23200                      // 000000005B18: D8EC5AA0 16000005
	ds_read_b64 v[24:25], v5 offset:27840                      // 000000005B20: D8EC6CC0 18000005
	ds_read_b64 v[26:27], v5 offset:32480                      // 000000005B28: D8EC7EE0 1A000005
	v_mfma_f32_16x16x16_bf16 v[152:155], a[146:147], v[36:37], v[152:155]// 000000005B30: D3E10098 0E624992
	v_mfma_f32_16x16x16_bf16 v[156:159], a[148:149], v[36:37], v[156:159]// 000000005B38: D3E1009C 0E724994
	v_mfma_f32_16x16x16_bf16 v[160:163], a[150:151], v[36:37], v[160:163]// 000000005B40: D3E100A0 0E824996
	v_mfma_f32_16x16x16_bf16 v[164:167], a[152:153], v[36:37], v[164:167]// 000000005B48: D3E100A4 0E924998
	ds_read_b128 a[144:147], v4 offset:18560                   // 000000005B50: DBFE4880 90000004
	ds_read_b128 a[148:151], v4 offset:18624                   // 000000005B58: DBFE48C0 94000004
	v_mfma_f32_16x16x16_bf16 v[168:171], a[154:155], v[36:37], v[168:171]// 000000005B60: D3E100A8 0EA2499A
	v_mfma_f32_16x16x16_bf16 v[172:175], a[156:157], v[36:37], v[172:175]// 000000005B68: D3E100AC 0EB2499C
	s_waitcnt lgkmcnt(2)                                       // 000000005B70: BF8CC27F
	v_perm_b32 v28, v22, v20, s53                              // 000000005B74: D1ED001C 00D62916
	v_perm_b32 v30, v22, v20, s52                              // 000000005B7C: D1ED001E 00D22916
	v_perm_b32 v29, v26, v24, s53                              // 000000005B84: D1ED001D 00D6311A
	v_perm_b32 v31, v26, v24, s52                              // 000000005B8C: D1ED001F 00D2311A
	v_mfma_f32_16x16x16_bf16 v[176:179], a[158:159], v[36:37], v[176:179]// 000000005B94: D3E100B0 0EC2499E
	v_mfma_f32_16x16x16_bf16 v[180:183], a[160:161], v[36:37], v[180:183]// 000000005B9C: D3E100B4 0ED249A0
	ds_write_b128 v6, v[28:31] offset:37120                    // 000000005BA4: D9BE9100 00001C06
	v_mfma_f32_16x16x16_bf16 v[184:187], a[162:163], v[36:37], v[184:187]// 000000005BAC: D3E100B8 0EE249A2
	v_mfma_f32_16x16x16_bf16 v[188:191], a[164:165], v[36:37], v[188:191]// 000000005BB4: D3E100BC 0EF249A4
	v_perm_b32 v28, v23, v21, s53                              // 000000005BBC: D1ED001C 00D62B17
	v_perm_b32 v30, v23, v21, s52                              // 000000005BC4: D1ED001E 00D22B17
	v_perm_b32 v29, v27, v25, s53                              // 000000005BCC: D1ED001D 00D6331B
	v_perm_b32 v31, v27, v25, s52                              // 000000005BD4: D1ED001F 00D2331B
	v_mfma_f32_16x16x16_bf16 v[192:195], a[166:167], v[36:37], v[192:195]// 000000005BDC: D3E100C0 0F0249A6
	v_mfma_f32_16x16x16_bf16 v[196:199], a[168:169], v[36:37], v[196:199]// 000000005BE4: D3E100C4 0F1249A8
	ds_write_b128 v6, v[28:31] offset:38144                    // 000000005BEC: D9BE9500 00001C06
	v_mfma_f32_16x16x16_bf16 v[200:203], a[170:171], v[36:37], v[200:203]// 000000005BF4: D3E100C8 0F2249AA
	v_mfma_f32_16x16x16_bf16 v[204:207], a[172:173], v[36:37], v[204:207]// 000000005BFC: D3E100CC 0F3249AC
	v_mfma_f32_16x16x16_bf16 v[208:211], a[174:175], v[36:37], v[208:211]// 000000005C04: D3E100D0 0F4249AE
	v_mfma_f32_16x16x16_bf16 v[212:215], a[176:177], v[36:37], v[212:215]// 000000005C0C: D3E100D4 0F5249B0
	ds_read_b64 v[20:21], v5 offset:19584                      // 000000005C14: D8EC4C80 14000005
	ds_read_b64 v[22:23], v5 offset:24224                      // 000000005C1C: D8EC5EA0 16000005
	v_mfma_f32_16x16x16_bf16 v[216:219], a[178:179], v[36:37], v[216:219]// 000000005C24: D3E100D8 0F6249B2
	v_mfma_f32_16x16x16_bf16 v[220:223], a[180:181], v[36:37], v[220:223]// 000000005C2C: D3E100DC 0F7249B4
	ds_read_b64 v[24:25], v5 offset:28864                      // 000000005C34: D8EC70C0 18000005
	ds_read_b64 v[26:27], v5 offset:33504                      // 000000005C3C: D8EC82E0 1A000005
	v_mfma_f32_16x16x16_bf16 v[224:227], a[182:183], v[36:37], v[224:227]// 000000005C44: D3E100E0 0F8249B6
	v_mfma_f32_16x16x16_bf16 v[228:231], a[184:185], v[36:37], v[228:231]// 000000005C4C: D3E100E4 0F9249B8
	ds_read_b128 a[152:155], v4 offset:18816                   // 000000005C54: DBFE4980 98000004
	ds_read_b128 a[156:159], v4 offset:18880                   // 000000005C5C: DBFE49C0 9C000004
	v_mfma_f32_16x16x16_bf16 v[232:235], a[186:187], v[36:37], v[232:235]// 000000005C64: D3E100E8 0FA249BA
	v_mfma_f32_16x16x16_bf16 v[236:239], a[188:189], v[36:37], v[236:239]// 000000005C6C: D3E100EC 0FB249BC
	v_mfma_f32_16x16x16_bf16 v[240:243], a[190:191], v[36:37], v[240:243]// 000000005C74: D3E100F0 0FC249BE
	v_mfma_f32_16x16x16_bf16 v[244:247], a[192:193], v[36:37], v[244:247]// 000000005C7C: D3E100F4 0FD249C0
	ds_read_b128 a[160:163], v4 offset:19072                   // 000000005C84: DBFE4A80 A0000004
	ds_read_b128 a[164:167], v4 offset:19136                   // 000000005C8C: DBFE4AC0 A4000004
	v_mfma_f32_16x16x16_bf16 v[248:251], a[194:195], v[36:37], v[248:251]// 000000005C94: D3E100F8 0FE249C2
	v_mfma_f32_16x16x16_bf16 v[252:255], a[196:197], v[36:37], v[252:255]// 000000005C9C: D3E100FC 0FF249C4
	v_mfma_f32_16x16x16_bf16 a[236:239], a[198:199], v[36:37], a[236:239]// 000000005CA4: D3E180EC 0FB249C6
	v_mfma_f32_16x16x16_bf16 a[240:243], a[200:201], v[36:37], a[240:243]// 000000005CAC: D3E180F0 0FC249C8
	ds_read_b128 a[168:171], v4 offset:19328                   // 000000005CB4: DBFE4B80 A8000004
	ds_read_b128 a[172:175], v4 offset:19392                   // 000000005CBC: DBFE4BC0 AC000004
	v_mfma_f32_16x16x16_bf16 a[244:247], a[202:203], v[36:37], a[244:247]// 000000005CC4: D3E180F4 0FD249CA
	v_mfma_f32_16x16x16_bf16 a[248:251], a[204:205], v[36:37], a[248:251]// 000000005CCC: D3E180F8 0FE249CC
	v_mfma_f32_16x16x16_bf16 a[252:255], a[206:207], v[36:37], a[252:255]// 000000005CD4: D3E180FC 0FF249CE
	s_nop 0                                                    // 000000005CDC: BF800000
	s_addk_i32 s70, 0x1                                        // 000000005CE0: B7460001
	s_cmp_lt_i32 s70, s71                                      // 000000005CE4: BF044746
	s_cbranch_scc0 label_0EFC                                  // 000000005CE8: BF84FBC1
	s_waitcnt lgkmcnt(4)                                       // 000000005CEC: BF8CC47F
	v_mfma_f32_16x16x16_bf16 v[32:35], a[144:145], a[0:1], 0   // 000000005CF0: D3E10020 1A020190
	buffer_load_dword v11, v8, s[24:27], 0 offen               // 000000005CF8: E0501000 80060B08
	v_mfma_f32_16x16x16_bf16 v[32:35], a[146:147], a[2:3], v[32:35]// 000000005D00: D3E10020 1C820592
	ds_read_b128 a[176:179], v4 offset:19584                   // 000000005D08: DBFE4C80 B0000004
	ds_read_b128 a[180:183], v4 offset:19648                   // 000000005D10: DBFE4CC0 B4000004
	v_mfma_f32_16x16x16_bf16 v[32:35], a[148:149], a[4:5], v[32:35]// 000000005D18: D3E10020 1C820994
	v_mfma_f32_16x16x16_bf16 v[32:35], a[150:151], a[6:7], v[32:35]// 000000005D20: D3E10020 1C820D96
	v_mfma_f32_16x16x16_bf16 v[32:35], a[152:153], a[8:9], v[32:35]// 000000005D28: D3E10020 1C821198
	v_mfma_f32_16x16x16_bf16 v[32:35], a[154:155], a[10:11], v[32:35]// 000000005D30: D3E10020 1C82159A
	ds_read_b128 a[184:187], v4 offset:19840                   // 000000005D38: DBFE4D80 B8000004
	ds_read_b128 a[188:191], v4 offset:19904                   // 000000005D40: DBFE4DC0 BC000004
	v_mfma_f32_16x16x16_bf16 v[32:35], a[156:157], a[12:13], v[32:35]// 000000005D48: D3E10020 1C82199C
	v_mfma_f32_16x16x16_bf16 v[32:35], a[158:159], a[14:15], v[32:35]// 000000005D50: D3E10020 1C821D9E
	s_waitcnt lgkmcnt(4)                                       // 000000005D58: BF8CC47F
	v_mfma_f32_16x16x16_bf16 v[32:35], a[160:161], a[16:17], v[32:35]// 000000005D5C: D3E10020 1C8221A0
	v_mfma_f32_16x16x16_bf16 v[32:35], a[162:163], a[18:19], v[32:35]// 000000005D64: D3E10020 1C8225A2
	ds_read_b128 a[192:195], v4 offset:20096                   // 000000005D6C: DBFE4E80 C0000004
	ds_read_b128 a[196:199], v4 offset:20160                   // 000000005D74: DBFE4EC0 C4000004
	v_mfma_f32_16x16x16_bf16 v[32:35], a[164:165], a[20:21], v[32:35]// 000000005D7C: D3E10020 1C8229A4
	v_mfma_f32_16x16x16_bf16 v[32:35], a[166:167], a[22:23], v[32:35]// 000000005D84: D3E10020 1C822DA6
	v_mfma_f32_16x16x16_bf16 v[32:35], a[168:169], a[24:25], v[32:35]// 000000005D8C: D3E10020 1C8231A8
	v_mfma_f32_16x16x16_bf16 v[32:35], a[170:171], a[26:27], v[32:35]// 000000005D94: D3E10020 1C8235AA
	ds_read_b128 a[200:203], v4 offset:20352                   // 000000005D9C: DBFE4F80 C8000004
	ds_read_b128 a[204:207], v4 offset:20416                   // 000000005DA4: DBFE4FC0 CC000004
	v_mfma_f32_16x16x16_bf16 v[32:35], a[172:173], a[28:29], v[32:35]// 000000005DAC: D3E10020 1C8239AC
	v_mfma_f32_16x16x16_bf16 v[32:35], a[174:175], a[30:31], v[32:35]// 000000005DB4: D3E10020 1C823DAE
	s_waitcnt lgkmcnt(4)                                       // 000000005DBC: BF8CC47F
	s_barrier                                                  // 000000005DC0: BF8A0000
	v_mfma_f32_16x16x16_bf16 v[32:35], a[176:177], a[32:33], v[32:35]// 000000005DC4: D3E10020 1C8241B0
	v_mfma_f32_16x16x16_bf16 v[32:35], a[178:179], a[34:35], v[32:35]// 000000005DCC: D3E10020 1C8245B2
	ds_read_b128 a[208:211], v4 offset:20608                   // 000000005DD4: DBFE5080 D0000004
	ds_read_b128 a[212:215], v4 offset:20672                   // 000000005DDC: DBFE50C0 D4000004
	v_mfma_f32_16x16x16_bf16 v[32:35], a[180:181], a[36:37], v[32:35]// 000000005DE4: D3E10020 1C8249B4
	buffer_load_dword v18, s[20:23], 0 offen lds               // 000000005DEC: E0511000 80050012
	s_add_u32 m0, 0, s37                                       // 000000005DF4: 807C2580
	v_mfma_f32_16x16x16_bf16 v[32:35], a[182:183], a[38:39], v[32:35]// 000000005DF8: D3E10020 1C824DB6
	v_perm_b32 v28, v22, v20, s53                              // 000000005E00: D1ED001C 00D62916
	v_perm_b32 v30, v22, v20, s52                              // 000000005E08: D1ED001E 00D22916
	v_perm_b32 v29, v26, v24, s53                              // 000000005E10: D1ED001D 00D6311A
	v_perm_b32 v31, v26, v24, s52                              // 000000005E18: D1ED001F 00D2311A
	v_mfma_f32_16x16x16_bf16 v[32:35], a[184:185], a[40:41], v[32:35]// 000000005E20: D3E10020 1C8251B8
	buffer_load_dword v19, s[20:23], 0 offen lds               // 000000005E28: E0511000 80050013
	s_add_u32 m0, 0x80, s36                                    // 000000005E30: 807C24FF 00000080
	v_mfma_f32_16x16x16_bf16 v[32:35], a[186:187], a[42:43], v[32:35]// 000000005E38: D3E10020 1C8255BA
	ds_write_b128 v6, v[28:31] offset:45312                    // 000000005E40: D9BEB100 00001C06
	v_mfma_f32_16x16x16_bf16 v[32:35], a[188:189], a[44:45], v[32:35]// 000000005E48: D3E10020 1C8259BC
	buffer_load_dword v18, s[20:23], 0 offen offset:128 lds    // 000000005E50: E0511080 80050012
	s_add_u32 m0, 0x80, s37                                    // 000000005E58: 807C25FF 00000080
	v_mfma_f32_16x16x16_bf16 v[32:35], a[190:191], a[46:47], v[32:35]// 000000005E60: D3E10020 1C825DBE
	v_perm_b32 v28, v23, v21, s53                              // 000000005E68: D1ED001C 00D62B17
	v_perm_b32 v30, v23, v21, s52                              // 000000005E70: D1ED001E 00D22B17
	v_perm_b32 v29, v27, v25, s53                              // 000000005E78: D1ED001D 00D6331B
	v_perm_b32 v31, v27, v25, s52                              // 000000005E80: D1ED001F 00D2331B
	s_waitcnt lgkmcnt(1)                                       // 000000005E88: BF8CC17F
	v_mfma_f32_16x16x16_bf16 v[32:35], a[192:193], a[48:49], v[32:35]// 000000005E8C: D3E10020 1C8261C0
	buffer_load_dword v19, s[20:23], 0 offen offset:128 lds    // 000000005E94: E0511080 80050013
	s_add_u32 m0, 0x100, s36                                   // 000000005E9C: 807C24FF 00000100
	v_mfma_f32_16x16x16_bf16 v[32:35], a[194:195], a[50:51], v[32:35]// 000000005EA4: D3E10020 1C8265C2
	ds_write_b128 v6, v[28:31] offset:46336                    // 000000005EAC: D9BEB500 00001C06
	v_mfma_f32_16x16x16_bf16 v[32:35], a[196:197], a[52:53], v[32:35]// 000000005EB4: D3E10020 1C8269C4
	buffer_load_dword v18, s[20:23], 0 offen offset:256 lds    // 000000005EBC: E0511100 80050012
	s_add_u32 m0, 0x100, s37                                   // 000000005EC4: 807C25FF 00000100
	v_mfma_f32_16x16x16_bf16 v[32:35], a[198:199], a[54:55], v[32:35]// 000000005ECC: D3E10020 1C826DC6
	v_mfma_f32_16x16x16_bf16 v[32:35], a[200:201], a[56:57], v[32:35]// 000000005ED4: D3E10020 1C8271C8
	buffer_load_dword v19, s[20:23], 0 offen offset:256 lds    // 000000005EDC: E0511100 80050013
	s_add_u32 m0, 0x180, s36                                   // 000000005EE4: 807C24FF 00000180
	v_mfma_f32_16x16x16_bf16 v[32:35], a[202:203], a[58:59], v[32:35]// 000000005EEC: D3E10020 1C8275CA
	v_mfma_f32_16x16x16_bf16 v[32:35], a[204:205], a[60:61], v[32:35]// 000000005EF4: D3E10020 1C8279CC
	buffer_load_dword v18, s[20:23], 0 offen offset:384 lds    // 000000005EFC: E0511180 80050012
	s_add_u32 m0, 0x180, s37                                   // 000000005F04: 807C25FF 00000180
	v_mfma_f32_16x16x16_bf16 v[32:35], a[206:207], a[62:63], v[32:35]// 000000005F0C: D3E10020 1C827DCE
	v_mfma_f32_16x16x16_bf16 v[32:35], a[208:209], a[64:65], v[32:35]// 000000005F14: D3E10020 1C8281D0
	buffer_load_dword v19, s[20:23], 0 offen offset:384 lds    // 000000005F1C: E0511180 80050013
	s_add_u32 m0, 0x200, s36                                   // 000000005F24: 807C24FF 00000200
	v_mfma_f32_16x16x16_bf16 v[32:35], a[210:211], a[66:67], v[32:35]// 000000005F2C: D3E10020 1C8285D2
	v_mfma_f32_16x16x16_bf16 v[32:35], a[212:213], a[68:69], v[32:35]// 000000005F34: D3E10020 1C8289D4
	buffer_load_dword v18, s[20:23], 0 offen offset:512 lds    // 000000005F3C: E0511200 80050012
	s_add_u32 m0, 0x200, s37                                   // 000000005F44: 807C25FF 00000200
	v_mfma_f32_16x16x16_bf16 v[32:35], a[214:215], a[70:71], v[32:35]// 000000005F4C: D3E10020 1C828DD6
	v_add_u32_e32 v8, s73, v8                                  // 000000005F54: 68101049
	s_waitcnt lgkmcnt(0)                                       // 000000005F58: BF8CC07F
	s_barrier                                                  // 000000005F5C: BF8A0000
	v_mfma_f32_16x16x16_bf16 v[36:39], a[144:145], a[72:73], 0 // 000000005F60: D3E10024 1A029190
	v_mfma_f32_16x16x16_bf16 v[36:39], a[146:147], a[74:75], v[36:39]// 000000005F68: D3E10024 1C929592
	v_max3_f32 v24, v32, v33, v32                              // 000000005F70: D1D30018 04824320
	v_max3_f32 v24, v34, v35, v24                              // 000000005F78: D1D30018 04624722
	ds_write_b32 v3, v24 offset:53504                          // 000000005F80: D81AD100 00001803
	v_mfma_f32_16x16x16_bf16 v[36:39], a[148:149], a[76:77], v[36:39]// 000000005F88: D3E10024 1C929994
	buffer_load_dword v19, s[20:23], 0 offen offset:512 lds    // 000000005F90: E0511200 80050013
	s_add_u32 m0, 0x280, s36                                   // 000000005F98: 807C24FF 00000280
	v_mfma_f32_16x16x16_bf16 v[36:39], a[150:151], a[78:79], v[36:39]// 000000005FA0: D3E10024 1C929D96
	v_mfma_f32_16x16x16_bf16 v[36:39], a[152:153], a[80:81], v[36:39]// 000000005FA8: D3E10024 1C92A198
	buffer_load_dword v18, s[20:23], 0 offen offset:640 lds    // 000000005FB0: E0511280 80050012
	s_add_u32 m0, 0x280, s37                                   // 000000005FB8: 807C25FF 00000280
	v_mfma_f32_16x16x16_bf16 v[36:39], a[154:155], a[82:83], v[36:39]// 000000005FC0: D3E10024 1C92A59A
	v_mfma_f32_16x16x16_bf16 v[36:39], a[156:157], a[84:85], v[36:39]// 000000005FC8: D3E10024 1C92A99C
	s_waitcnt lgkmcnt(0)                                       // 000000005FD0: BF8CC07F
	ds_read_b32 v20, v2 offset:53504                           // 000000005FD4: D86CD100 14000002
	ds_read_b32 v21, v2 offset:53568                           // 000000005FDC: D86CD140 15000002
	v_mfma_f32_16x16x16_bf16 v[36:39], a[158:159], a[86:87], v[36:39]// 000000005FE4: D3E10024 1C92AD9E
	ds_read_b32 v22, v2 offset:53632                           // 000000005FEC: D86CD180 16000002
	ds_read_b32 v23, v2 offset:53696                           // 000000005FF4: D86CD1C0 17000002
	v_mfma_f32_16x16x16_bf16 v[36:39], a[160:161], a[88:89], v[36:39]// 000000005FFC: D3E10024 1C92B1A0
	buffer_load_dword v19, s[20:23], 0 offen offset:640 lds    // 000000006004: E0511280 80050013
	s_add_u32 m0, 0x300, s36                                   // 00000000600C: 807C24FF 00000300
	v_mfma_f32_16x16x16_bf16 v[36:39], a[162:163], a[90:91], v[36:39]// 000000006014: D3E10024 1C92B5A2
	v_mfma_f32_16x16x16_bf16 v[36:39], a[164:165], a[92:93], v[36:39]// 00000000601C: D3E10024 1C92B9A4
	buffer_load_dword v18, s[20:23], 0 offen offset:768 lds    // 000000006024: E0511300 80050012
	s_add_u32 m0, 0x300, s37                                   // 00000000602C: 807C25FF 00000300
	v_mfma_f32_16x16x16_bf16 v[36:39], a[166:167], a[94:95], v[36:39]// 000000006034: D3E10024 1C92BDA6
	v_mfma_f32_16x16x16_bf16 v[36:39], a[168:169], a[96:97], v[36:39]// 00000000603C: D3E10024 1C92C1A8
	buffer_load_dword v19, s[20:23], 0 offen offset:768 lds    // 000000006044: E0511300 80050013
	s_add_u32 m0, 0x380, s36                                   // 00000000604C: 807C24FF 00000380
	v_mfma_f32_16x16x16_bf16 v[36:39], a[170:171], a[98:99], v[36:39]// 000000006054: D3E10024 1C92C5AA
	v_mfma_f32_16x16x16_bf16 v[36:39], a[172:173], a[100:101], v[36:39]// 00000000605C: D3E10024 1C92C9AC
	s_waitcnt lgkmcnt(0)                                       // 000000006064: BF8CC07F
	v_max3_f32 v24, v20, v21, v24                              // 000000006068: D1D30018 04622B14
	v_max3_f32 v24, v22, v23, v24                              // 000000006070: D1D30018 04622F16
	v_mfma_f32_16x16x16_bf16 v[36:39], a[174:175], a[102:103], v[36:39]// 000000006078: D3E10024 1C92CDAE
	v_mfma_f32_16x16x16_bf16 v[36:39], a[176:177], a[104:105], v[36:39]// 000000006080: D3E10024 1C92D1B0
	buffer_load_dword v18, s[20:23], 0 offen offset:896 lds    // 000000006088: E0511380 80050012
	s_add_u32 m0, 0x380, s37                                   // 000000006090: 807C25FF 00000380
	v_mfma_f32_16x16x16_bf16 v[36:39], a[178:179], a[106:107], v[36:39]// 000000006098: D3E10024 1C92D5B2
	v_mfma_f32_16x16x16_bf16 v[36:39], a[180:181], a[108:109], v[36:39]// 0000000060A0: D3E10024 1C92D9B4
	buffer_load_dword v19, s[20:23], 0 offen offset:896 lds    // 0000000060A8: E0511380 80050013
	s_add_u32 m0, 0x400, s36                                   // 0000000060B0: 807C24FF 00000400
	v_mfma_f32_16x16x16_bf16 v[36:39], a[182:183], a[110:111], v[36:39]// 0000000060B8: D3E10024 1C92DDB6
	v_mfma_f32_16x16x16_bf16 v[36:39], a[184:185], a[112:113], v[36:39]// 0000000060C0: D3E10024 1C92E1B8
	buffer_load_dword v18, s[20:23], 0 offen offset:1024 lds   // 0000000060C8: E0511400 80050012
	s_add_u32 m0, 0x400, s37                                   // 0000000060D0: 807C25FF 00000400
	v_mfma_f32_16x16x16_bf16 v[36:39], a[186:187], a[114:115], v[36:39]// 0000000060D8: D3E10024 1C92E5BA
	ds_read_b128 a[144:147], v7 offset:37120                   // 0000000060E0: DBFE9100 90000007
	ds_read_b128 a[148:151], v7 offset:38144                   // 0000000060E8: DBFE9500 94000007
	v_mfma_f32_16x16x16_bf16 v[36:39], a[188:189], a[116:117], v[36:39]// 0000000060F0: D3E10024 1C92E9BC
	v_mfma_f32_16x16x16_bf16 v[36:39], a[190:191], a[118:119], v[36:39]// 0000000060F8: D3E10024 1C92EDBE
	v_mfma_f32_16x16x16_bf16 v[36:39], a[192:193], a[120:121], v[36:39]// 000000006100: D3E10024 1C92F1C0
	buffer_load_dword v19, s[20:23], 0 offen offset:1024 lds   // 000000006108: E0511400 80050013
	s_add_u32 m0, 0x480, s36                                   // 000000006110: 807C24FF 00000480
	v_mfma_f32_16x16x16_bf16 v[36:39], a[194:195], a[122:123], v[36:39]// 000000006118: D3E10024 1C92F5C2
	ds_read_b128 a[152:155], v7 offset:39168                   // 000000006120: DBFE9900 98000007
	ds_read_b128 a[156:159], v7 offset:40192                   // 000000006128: DBFE9D00 9C000007
	v_mfma_f32_16x16x16_bf16 v[36:39], a[196:197], a[124:125], v[36:39]// 000000006130: D3E10024 1C92F9C4
	v_mfma_f32_16x16x16_bf16 v[36:39], a[198:199], a[126:127], v[36:39]// 000000006138: D3E10024 1C92FDC6
	v_mfma_f32_16x16x16_bf16 v[36:39], a[200:201], a[128:129], v[36:39]// 000000006140: D3E10024 1C9301C8
	v_mfma_f32_16x16x16_bf16 v[36:39], a[202:203], a[130:131], v[36:39]// 000000006148: D3E10024 1C9305CA
	ds_read_b128 a[160:163], v7 offset:41216                   // 000000006150: DBFEA100 A0000007
	ds_read_b128 a[164:167], v7 offset:42240                   // 000000006158: DBFEA500 A4000007
	v_mfma_f32_16x16x16_bf16 v[36:39], a[204:205], a[132:133], v[36:39]// 000000006160: D3E10024 1C9309CC
	v_mfma_f32_16x16x16_bf16 v[36:39], a[206:207], a[134:135], v[36:39]// 000000006168: D3E10024 1C930DCE
	v_mfma_f32_16x16x16_bf16 v[36:39], a[208:209], a[136:137], v[36:39]// 000000006170: D3E10024 1C9311D0
	v_mfma_f32_16x16x16_bf16 v[36:39], a[210:211], a[138:139], v[36:39]// 000000006178: D3E10024 1C9315D2
	ds_read_b128 a[168:171], v7 offset:43264                   // 000000006180: DBFEA900 A8000007
	ds_read_b128 a[172:175], v7 offset:44288                   // 000000006188: DBFEAD00 AC000007
	v_mfma_f32_16x16x16_bf16 v[36:39], a[212:213], a[140:141], v[36:39]// 000000006190: D3E10024 1C9319D4
	v_mfma_f32_16x16x16_bf16 v[36:39], a[214:215], a[142:143], v[36:39]// 000000006198: D3E10024 1C931DD6
	v_mov_b32_e32 v25, 0xff7fffff                              // 0000000061A0: 7E3202FF FF7FFFFF
	v_cmp_eq_u32_e64 s[38:39], v25, v12                        // 0000000061A8: D0CA0026 00021919
	v_max_f32_e32 v20, v24, v12                                // 0000000061B0: 16281918
	v_sub_f32_e32 v16, v12, v20                                // 0000000061B4: 0420290C
	v_cndmask_b32_e64 v16, v16, 0, s[38:39]                    // 0000000061B8: D1000010 00990110
	v_mov_b32_e32 v12, v20                                     // 0000000061C0: 7E180314
	v_mul_f32_e32 v21, s5, v20                                 // 0000000061C4: 0A2A2805
	v_mul_f32_e32 v16, s5, v16                                 // 0000000061C8: 0A202005
	v_exp_f32_e32 v16, v16                                     // 0000000061CC: 7E204110
	v_fma_f32 v32, v32, s5, -v21                               // 0000000061D0: D1CB0020 84540B20
	v_fma_f32 v33, v33, s5, -v21                               // 0000000061D8: D1CB0021 84540B21
	v_fma_f32 v34, v34, s5, -v21                               // 0000000061E0: D1CB0022 84540B22
	v_fma_f32 v35, v35, s5, -v21                               // 0000000061E8: D1CB0023 84540B23
	v_exp_f32_e32 v32, v32                                     // 0000000061F0: 7E404120
	v_exp_f32_e32 v33, v33                                     // 0000000061F4: 7E424121
	v_exp_f32_e32 v34, v34                                     // 0000000061F8: 7E444122
	v_exp_f32_e32 v35, v35                                     // 0000000061FC: 7E464123
	v_mul_f32_e32 v14, v16, v14                                // 000000006200: 0A1C1D10
	v_mov_b32_e32 v22, v32                                     // 000000006204: 7E2C0320
	v_add_f32_e32 v22, v33, v22                                // 000000006208: 022C2D21
	v_add_f32_e32 v22, v34, v22                                // 00000000620C: 022C2D22
	v_add_f32_e32 v22, v35, v22                                // 000000006210: 022C2D23
	v_add_f32_e32 v14, v22, v14                                // 000000006214: 021C1D16
	v_mov_b32_e32 v29, 0xffff0000                              // 000000006218: 7E3A02FF FFFF0000
	v_mov_b32_e32 v30, 0x7fff0000                              // 000000006220: 7E3C02FF 7FFF0000
	v_mov_b32_e32 v31, 0x7fff                                  // 000000006228: 7E3E02FF 00007FFF
	v_cmp_u_f32_e64 s[38:39], v32, v32                         // 000000006230: D0480026 00024120
	v_add3_u32 v28, v32, v31, 1                                // 000000006238: D1FF001C 02063F20
	v_cndmask_b32_e64 v20, v28, v30, s[38:39]                  // 000000006240: D1000014 009A3D1C
	v_cmp_u_f32_e64 s[38:39], v33, v33                         // 000000006248: D0480026 00024321
	v_add3_u32 v28, v33, v31, 1                                // 000000006250: D1FF001C 02063F21
	v_cndmask_b32_e64 v21, v28, v30, s[38:39]                  // 000000006258: D1000015 009A3D1C
	v_perm_b32 v32, v21, v20, s52                              // 000000006260: D1ED0020 00D22915
	v_cmp_u_f32_e64 s[38:39], v34, v34                         // 000000006268: D0480026 00024522
	v_add3_u32 v28, v34, v31, 1                                // 000000006270: D1FF001C 02063F22
	v_cndmask_b32_e64 v20, v28, v30, s[38:39]                  // 000000006278: D1000014 009A3D1C
	v_cmp_u_f32_e64 s[38:39], v35, v35                         // 000000006280: D0480026 00024723
	v_add3_u32 v28, v35, v31, 1                                // 000000006288: D1FF001C 02063F23
	v_cndmask_b32_e64 v21, v28, v30, s[38:39]                  // 000000006290: D1000015 009A3D1C
	v_perm_b32 v33, v21, v20, s52                              // 000000006298: D1ED0021 00D22915
	s_nop 2                                                    // 0000000062A0: BF800002
	v_mul_u32_u24_dpp v18, v10, v9 row_newbcast:0 row_mask:0xf bank_mask:0xf// 0000000062A4: 102412FA FF01500A
	v_mul_u32_u24_dpp v19, v10, v9 row_newbcast:8 row_mask:0xf bank_mask:0xf// 0000000062AC: 102612FA FF01580A
	v_add_u32_e32 v18, v18, v1                                 // 0000000062B4: 68240312
	v_add_u32_e32 v19, v19, v1                                 // 0000000062B8: 68260313
	s_mov_b32 m0, s34                                          // 0000000062BC: BEFC0022
	v_mov_b32_e32 v22, v16                                     // 0000000062C0: 7E2C0310
	v_mov_b32_e32 v23, v16                                     // 0000000062C4: 7E2E0310
	v_pk_mul_f32 v[40:41], v[22:23], v[40:41]                  // 0000000062C8: D3B14028 18025116
	v_pk_mul_f32 v[42:43], v[22:23], v[42:43]                  // 0000000062D0: D3B1402A 18025516
	v_pk_mul_f32 v[44:45], v[22:23], v[44:45]                  // 0000000062D8: D3B1402C 18025916
	v_pk_mul_f32 v[46:47], v[22:23], v[46:47]                  // 0000000062E0: D3B1402E 18025D16
	v_pk_mul_f32 v[48:49], v[22:23], v[48:49]                  // 0000000062E8: D3B14030 18026116
	v_pk_mul_f32 v[50:51], v[22:23], v[50:51]                  // 0000000062F0: D3B14032 18026516
	v_pk_mul_f32 v[52:53], v[22:23], v[52:53]                  // 0000000062F8: D3B14034 18026916
	v_pk_mul_f32 v[54:55], v[22:23], v[54:55]                  // 000000006300: D3B14036 18026D16
	v_pk_mul_f32 v[56:57], v[22:23], v[56:57]                  // 000000006308: D3B14038 18027116
	v_pk_mul_f32 v[58:59], v[22:23], v[58:59]                  // 000000006310: D3B1403A 18027516
	v_pk_mul_f32 v[60:61], v[22:23], v[60:61]                  // 000000006318: D3B1403C 18027916
	v_pk_mul_f32 v[62:63], v[22:23], v[62:63]                  // 000000006320: D3B1403E 18027D16
	v_pk_mul_f32 v[64:65], v[22:23], v[64:65]                  // 000000006328: D3B14040 18028116
	v_pk_mul_f32 v[66:67], v[22:23], v[66:67]                  // 000000006330: D3B14042 18028516
	v_pk_mul_f32 v[68:69], v[22:23], v[68:69]                  // 000000006338: D3B14044 18028916
	v_pk_mul_f32 v[70:71], v[22:23], v[70:71]                  // 000000006340: D3B14046 18028D16
	v_pk_mul_f32 v[72:73], v[22:23], v[72:73]                  // 000000006348: D3B14048 18029116
	v_pk_mul_f32 v[74:75], v[22:23], v[74:75]                  // 000000006350: D3B1404A 18029516
	v_pk_mul_f32 v[76:77], v[22:23], v[76:77]                  // 000000006358: D3B1404C 18029916
	v_pk_mul_f32 v[78:79], v[22:23], v[78:79]                  // 000000006360: D3B1404E 18029D16
	v_pk_mul_f32 v[80:81], v[22:23], v[80:81]                  // 000000006368: D3B14050 1802A116
	v_pk_mul_f32 v[82:83], v[22:23], v[82:83]                  // 000000006370: D3B14052 1802A516
	v_pk_mul_f32 v[84:85], v[22:23], v[84:85]                  // 000000006378: D3B14054 1802A916
	v_pk_mul_f32 v[86:87], v[22:23], v[86:87]                  // 000000006380: D3B14056 1802AD16
	v_pk_mul_f32 v[88:89], v[22:23], v[88:89]                  // 000000006388: D3B14058 1802B116
	v_pk_mul_f32 v[90:91], v[22:23], v[90:91]                  // 000000006390: D3B1405A 1802B516
	v_pk_mul_f32 v[92:93], v[22:23], v[92:93]                  // 000000006398: D3B1405C 1802B916
	v_pk_mul_f32 v[94:95], v[22:23], v[94:95]                  // 0000000063A0: D3B1405E 1802BD16
	v_pk_mul_f32 v[96:97], v[22:23], v[96:97]                  // 0000000063A8: D3B14060 1802C116
	v_pk_mul_f32 v[98:99], v[22:23], v[98:99]                  // 0000000063B0: D3B14062 1802C516
	v_pk_mul_f32 v[100:101], v[22:23], v[100:101]              // 0000000063B8: D3B14064 1802C916
	v_pk_mul_f32 v[102:103], v[22:23], v[102:103]              // 0000000063C0: D3B14066 1802CD16
	v_pk_mul_f32 v[104:105], v[22:23], v[104:105]              // 0000000063C8: D3B14068 1802D116
	v_pk_mul_f32 v[106:107], v[22:23], v[106:107]              // 0000000063D0: D3B1406A 1802D516
	v_pk_mul_f32 v[108:109], v[22:23], v[108:109]              // 0000000063D8: D3B1406C 1802D916
	v_pk_mul_f32 v[110:111], v[22:23], v[110:111]              // 0000000063E0: D3B1406E 1802DD16
	v_pk_mul_f32 v[112:113], v[22:23], v[112:113]              // 0000000063E8: D3B14070 1802E116
	v_pk_mul_f32 v[114:115], v[22:23], v[114:115]              // 0000000063F0: D3B14072 1802E516
	v_pk_mul_f32 v[116:117], v[22:23], v[116:117]              // 0000000063F8: D3B14074 1802E916
	v_pk_mul_f32 v[118:119], v[22:23], v[118:119]              // 000000006400: D3B14076 1802ED16
	v_pk_mul_f32 v[120:121], v[22:23], v[120:121]              // 000000006408: D3B14078 1802F116
	v_pk_mul_f32 v[122:123], v[22:23], v[122:123]              // 000000006410: D3B1407A 1802F516
	v_pk_mul_f32 v[124:125], v[22:23], v[124:125]              // 000000006418: D3B1407C 1802F916
	v_pk_mul_f32 v[126:127], v[22:23], v[126:127]              // 000000006420: D3B1407E 1802FD16
	v_pk_mul_f32 v[128:129], v[22:23], v[128:129]              // 000000006428: D3B14080 18030116
	v_pk_mul_f32 v[130:131], v[22:23], v[130:131]              // 000000006430: D3B14082 18030516
	v_pk_mul_f32 v[132:133], v[22:23], v[132:133]              // 000000006438: D3B14084 18030916
	v_pk_mul_f32 v[134:135], v[22:23], v[134:135]              // 000000006440: D3B14086 18030D16
	v_pk_mul_f32 v[136:137], v[22:23], v[136:137]              // 000000006448: D3B14088 18031116
	v_pk_mul_f32 v[138:139], v[22:23], v[138:139]              // 000000006450: D3B1408A 18031516
	v_pk_mul_f32 v[140:141], v[22:23], v[140:141]              // 000000006458: D3B1408C 18031916
	v_pk_mul_f32 v[142:143], v[22:23], v[142:143]              // 000000006460: D3B1408E 18031D16
	v_pk_mul_f32 v[144:145], v[22:23], v[144:145]              // 000000006468: D3B14090 18032116
	v_pk_mul_f32 v[146:147], v[22:23], v[146:147]              // 000000006470: D3B14092 18032516
	v_accvgpr_read_b32 v20, a216                               // 000000006478: D3D84014 180001D8
	v_accvgpr_read_b32 v21, a217                               // 000000006480: D3D84015 180001D9
	v_pk_mul_f32 v[20:21], v[22:23], v[20:21]                  // 000000006488: D3B14014 18022916
	v_accvgpr_write_b32 a216, v20                              // 000000006490: D3D940D8 18000114
	v_accvgpr_write_b32 a217, v21                              // 000000006498: D3D940D9 18000115
	v_accvgpr_read_b32 v20, a218                               // 0000000064A0: D3D84014 180001DA
	v_accvgpr_read_b32 v21, a219                               // 0000000064A8: D3D84015 180001DB
	v_pk_mul_f32 v[20:21], v[22:23], v[20:21]                  // 0000000064B0: D3B14014 18022916
	v_accvgpr_write_b32 a218, v20                              // 0000000064B8: D3D940DA 18000114
	v_accvgpr_write_b32 a219, v21                              // 0000000064C0: D3D940DB 18000115
	v_accvgpr_read_b32 v20, a220                               // 0000000064C8: D3D84014 180001DC
	v_accvgpr_read_b32 v21, a221                               // 0000000064D0: D3D84015 180001DD
	v_pk_mul_f32 v[20:21], v[22:23], v[20:21]                  // 0000000064D8: D3B14014 18022916
	v_accvgpr_write_b32 a220, v20                              // 0000000064E0: D3D940DC 18000114
	v_accvgpr_write_b32 a221, v21                              // 0000000064E8: D3D940DD 18000115
	v_accvgpr_read_b32 v20, a222                               // 0000000064F0: D3D84014 180001DE
	v_accvgpr_read_b32 v21, a223                               // 0000000064F8: D3D84015 180001DF
	v_pk_mul_f32 v[20:21], v[22:23], v[20:21]                  // 000000006500: D3B14014 18022916
	v_accvgpr_write_b32 a222, v20                              // 000000006508: D3D940DE 18000114
	v_accvgpr_write_b32 a223, v21                              // 000000006510: D3D940DF 18000115
	v_accvgpr_read_b32 v20, a224                               // 000000006518: D3D84014 180001E0
	v_accvgpr_read_b32 v21, a225                               // 000000006520: D3D84015 180001E1
	v_pk_mul_f32 v[20:21], v[22:23], v[20:21]                  // 000000006528: D3B14014 18022916
	v_accvgpr_write_b32 a224, v20                              // 000000006530: D3D940E0 18000114
	v_accvgpr_write_b32 a225, v21                              // 000000006538: D3D940E1 18000115
	v_accvgpr_read_b32 v20, a226                               // 000000006540: D3D84014 180001E2
	v_accvgpr_read_b32 v21, a227                               // 000000006548: D3D84015 180001E3
	v_pk_mul_f32 v[20:21], v[22:23], v[20:21]                  // 000000006550: D3B14014 18022916
	v_accvgpr_write_b32 a226, v20                              // 000000006558: D3D940E2 18000114
	v_accvgpr_write_b32 a227, v21                              // 000000006560: D3D940E3 18000115
	v_accvgpr_read_b32 v20, a228                               // 000000006568: D3D84014 180001E4
	v_accvgpr_read_b32 v21, a229                               // 000000006570: D3D84015 180001E5
	v_pk_mul_f32 v[20:21], v[22:23], v[20:21]                  // 000000006578: D3B14014 18022916
	v_accvgpr_write_b32 a228, v20                              // 000000006580: D3D940E4 18000114
	v_accvgpr_write_b32 a229, v21                              // 000000006588: D3D940E5 18000115
	v_accvgpr_read_b32 v20, a230                               // 000000006590: D3D84014 180001E6
	v_accvgpr_read_b32 v21, a231                               // 000000006598: D3D84015 180001E7
	v_pk_mul_f32 v[20:21], v[22:23], v[20:21]                  // 0000000065A0: D3B14014 18022916
	v_accvgpr_write_b32 a230, v20                              // 0000000065A8: D3D940E6 18000114
	v_accvgpr_write_b32 a231, v21                              // 0000000065B0: D3D940E7 18000115
	v_accvgpr_read_b32 v20, a232                               // 0000000065B8: D3D84014 180001E8
	v_accvgpr_read_b32 v21, a233                               // 0000000065C0: D3D84015 180001E9
	v_pk_mul_f32 v[20:21], v[22:23], v[20:21]                  // 0000000065C8: D3B14014 18022916
	v_accvgpr_write_b32 a232, v20                              // 0000000065D0: D3D940E8 18000114
	v_accvgpr_write_b32 a233, v21                              // 0000000065D8: D3D940E9 18000115
	v_accvgpr_read_b32 v20, a234                               // 0000000065E0: D3D84014 180001EA
	v_accvgpr_read_b32 v21, a235                               // 0000000065E8: D3D84015 180001EB
	v_pk_mul_f32 v[20:21], v[22:23], v[20:21]                  // 0000000065F0: D3B14014 18022916
	v_accvgpr_write_b32 a234, v20                              // 0000000065F8: D3D940EA 18000114
	v_accvgpr_write_b32 a235, v21                              // 000000006600: D3D940EB 18000115
	s_waitcnt lgkmcnt(0)                                       // 000000006608: BF8CC07F
	v_mfma_f32_16x16x16_bf16 v[40:43], a[144:145], v[32:33], v[40:43]// 00000000660C: D3E10028 0CA24190
	v_mfma_f32_16x16x16_bf16 v[44:47], a[146:147], v[32:33], v[44:47]// 000000006614: D3E1002C 0CB24192
	ds_read_b128 a[176:179], v7 offset:45312                   // 00000000661C: DBFEB100 B0000007
	ds_read_b128 a[180:183], v7 offset:46336                   // 000000006624: DBFEB500 B4000007
	v_mfma_f32_16x16x16_bf16 v[48:51], a[148:149], v[32:33], v[48:51]// 00000000662C: D3E10030 0CC24194
	v_mfma_f32_16x16x16_bf16 v[52:55], a[150:151], v[32:33], v[52:55]// 000000006634: D3E10034 0CD24196
	v_mfma_f32_16x16x16_bf16 v[56:59], a[152:153], v[32:33], v[56:59]// 00000000663C: D3E10038 0CE24198
	v_mfma_f32_16x16x16_bf16 v[60:63], a[154:155], v[32:33], v[60:63]// 000000006644: D3E1003C 0CF2419A
	ds_read_b128 a[184:187], v7 offset:47360                   // 00000000664C: DBFEB900 B8000007
	ds_read_b128 a[188:191], v7 offset:48384                   // 000000006654: DBFEBD00 BC000007
	v_mfma_f32_16x16x16_bf16 v[64:67], a[156:157], v[32:33], v[64:67]// 00000000665C: D3E10040 0D02419C
	v_mfma_f32_16x16x16_bf16 v[68:71], a[158:159], v[32:33], v[68:71]// 000000006664: D3E10044 0D12419E
	v_mfma_f32_16x16x16_bf16 v[72:75], a[160:161], v[32:33], v[72:75]// 00000000666C: D3E10048 0D2241A0
	v_mfma_f32_16x16x16_bf16 v[76:79], a[162:163], v[32:33], v[76:79]// 000000006674: D3E1004C 0D3241A2
	ds_read_b128 a[192:195], v7 offset:49408                   // 00000000667C: DBFEC100 C0000007
	ds_read_b128 a[196:199], v7 offset:50432                   // 000000006684: DBFEC500 C4000007
	v_mfma_f32_16x16x16_bf16 v[80:83], a[164:165], v[32:33], v[80:83]// 00000000668C: D3E10050 0D4241A4
	v_mfma_f32_16x16x16_bf16 v[84:87], a[166:167], v[32:33], v[84:87]// 000000006694: D3E10054 0D5241A6
	v_mfma_f32_16x16x16_bf16 v[88:91], a[168:169], v[32:33], v[88:91]// 00000000669C: D3E10058 0D6241A8
	v_mfma_f32_16x16x16_bf16 v[92:95], a[170:171], v[32:33], v[92:95]// 0000000066A4: D3E1005C 0D7241AA
	ds_read_b128 a[200:203], v7 offset:51456                   // 0000000066AC: DBFEC900 C8000007
	ds_read_b128 a[204:207], v7 offset:52480                   // 0000000066B4: DBFECD00 CC000007
	v_mfma_f32_16x16x16_bf16 v[96:99], a[172:173], v[32:33], v[96:99]// 0000000066BC: D3E10060 0D8241AC
	v_mfma_f32_16x16x16_bf16 v[100:103], a[174:175], v[32:33], v[100:103]// 0000000066C4: D3E10064 0D9241AE
	s_waitcnt lgkmcnt(4)                                       // 0000000066CC: BF8CC47F
	v_mfma_f32_16x16x16_bf16 v[104:107], a[176:177], v[32:33], v[104:107]// 0000000066D0: D3E10068 0DA241B0
	v_max3_f32 v24, v36, v37, v36                              // 0000000066D8: D1D30018 04924B24
	v_max3_f32 v24, v38, v39, v24                              // 0000000066E0: D1D30018 04624F26
	ds_write_b32 v3, v24 offset:54528                          // 0000000066E8: D81AD500 00001803
	v_mfma_f32_16x16x16_bf16 v[108:111], a[178:179], v[32:33], v[108:111]// 0000000066F0: D3E1006C 0DB241B2
	v_mfma_f32_16x16x16_bf16 v[112:115], a[180:181], v[32:33], v[112:115]// 0000000066F8: D3E10070 0DC241B4
	v_mfma_f32_16x16x16_bf16 v[116:119], a[182:183], v[32:33], v[116:119]// 000000006700: D3E10074 0DD241B6
	v_mfma_f32_16x16x16_bf16 v[120:123], a[184:185], v[32:33], v[120:123]// 000000006708: D3E10078 0DE241B8
	v_mfma_f32_16x16x16_bf16 v[124:127], a[186:187], v[32:33], v[124:127]// 000000006710: D3E1007C 0DF241BA
	v_mfma_f32_16x16x16_bf16 v[128:131], a[188:189], v[32:33], v[128:131]// 000000006718: D3E10080 0E0241BC
	v_mfma_f32_16x16x16_bf16 v[132:135], a[190:191], v[32:33], v[132:135]// 000000006720: D3E10084 0E1241BE
	s_waitcnt lgkmcnt(0)                                       // 000000006728: BF8CC07F
	v_mfma_f32_16x16x16_bf16 v[136:139], a[192:193], v[32:33], v[136:139]// 00000000672C: D3E10088 0E2241C0
	s_waitcnt lgkmcnt(0)                                       // 000000006734: BF8CC07F
	ds_read_b32 v20, v2 offset:54528                           // 000000006738: D86CD500 14000002
	ds_read_b32 v21, v2 offset:54592                           // 000000006740: D86CD540 15000002
	v_mfma_f32_16x16x16_bf16 v[140:143], a[194:195], v[32:33], v[140:143]// 000000006748: D3E1008C 0E3241C2
	ds_read_b32 v22, v2 offset:54656                           // 000000006750: D86CD580 16000002
	ds_read_b32 v23, v2 offset:54720                           // 000000006758: D86CD5C0 17000002
	v_mfma_f32_16x16x16_bf16 v[144:147], a[196:197], v[32:33], v[144:147]// 000000006760: D3E10090 0E4241C4
	v_mfma_f32_16x16x16_bf16 a[216:219], a[198:199], v[32:33], a[216:219]// 000000006768: D3E180D8 0F6241C6
	v_mfma_f32_16x16x16_bf16 a[220:223], a[200:201], v[32:33], a[220:223]// 000000006770: D3E180DC 0F7241C8
	v_mfma_f32_16x16x16_bf16 a[224:227], a[202:203], v[32:33], a[224:227]// 000000006778: D3E180E0 0F8241CA
	v_mfma_f32_16x16x16_bf16 a[228:231], a[204:205], v[32:33], a[228:231]// 000000006780: D3E180E4 0F9241CC
	v_mfma_f32_16x16x16_bf16 a[232:235], a[206:207], v[32:33], a[232:235]// 000000006788: D3E180E8 0FA241CE
	s_waitcnt lgkmcnt(0)                                       // 000000006790: BF8CC07F
	v_max3_f32 v24, v20, v21, v24                              // 000000006794: D1D30018 04622B14
	v_max3_f32 v24, v22, v23, v24                              // 00000000679C: D1D30018 04622F16
	v_mov_b32_e32 v25, 0xff7fffff                              // 0000000067A4: 7E3202FF FF7FFFFF
	v_cmp_eq_u32_e64 s[38:39], v25, v13                        // 0000000067AC: D0CA0026 00021B19
	v_max_f32_e32 v20, v24, v13                                // 0000000067B4: 16281B18
	v_sub_f32_e32 v17, v13, v20                                // 0000000067B8: 0422290D
	v_cndmask_b32_e64 v17, v17, 0, s[38:39]                    // 0000000067BC: D1000011 00990111
	v_mov_b32_e32 v13, v20                                     // 0000000067C4: 7E1A0314
	v_mul_f32_e32 v21, s5, v20                                 // 0000000067C8: 0A2A2805
	v_mul_f32_e32 v17, s5, v17                                 // 0000000067CC: 0A222205
	v_exp_f32_e32 v17, v17                                     // 0000000067D0: 7E224111
	v_fma_f32 v36, v36, s5, -v21                               // 0000000067D4: D1CB0024 84540B24
	v_fma_f32 v37, v37, s5, -v21                               // 0000000067DC: D1CB0025 84540B25
	v_fma_f32 v38, v38, s5, -v21                               // 0000000067E4: D1CB0026 84540B26
	v_fma_f32 v39, v39, s5, -v21                               // 0000000067EC: D1CB0027 84540B27
	v_exp_f32_e32 v36, v36                                     // 0000000067F4: 7E484124
	v_exp_f32_e32 v37, v37                                     // 0000000067F8: 7E4A4125
	v_exp_f32_e32 v38, v38                                     // 0000000067FC: 7E4C4126
	v_exp_f32_e32 v39, v39                                     // 000000006800: 7E4E4127
	v_mul_f32_e32 v15, v17, v15                                // 000000006804: 0A1E1F11
	v_mov_b32_e32 v22, v36                                     // 000000006808: 7E2C0324
	v_add_f32_e32 v22, v37, v22                                // 00000000680C: 022C2D25
	v_add_f32_e32 v22, v38, v22                                // 000000006810: 022C2D26
	v_add_f32_e32 v22, v39, v22                                // 000000006814: 022C2D27
	v_add_f32_e32 v15, v22, v15                                // 000000006818: 021E1F16
	v_mov_b32_e32 v29, 0xffff0000                              // 00000000681C: 7E3A02FF FFFF0000
	v_mov_b32_e32 v30, 0x7fff0000                              // 000000006824: 7E3C02FF 7FFF0000
	v_mov_b32_e32 v31, 0x7fff                                  // 00000000682C: 7E3E02FF 00007FFF
	v_cmp_u_f32_e64 s[38:39], v36, v36                         // 000000006834: D0480026 00024924
	v_add3_u32 v28, v36, v31, 1                                // 00000000683C: D1FF001C 02063F24
	v_cndmask_b32_e64 v20, v28, v30, s[38:39]                  // 000000006844: D1000014 009A3D1C
	v_cmp_u_f32_e64 s[38:39], v37, v37                         // 00000000684C: D0480026 00024B25
	v_add3_u32 v28, v37, v31, 1                                // 000000006854: D1FF001C 02063F25
	v_cndmask_b32_e64 v21, v28, v30, s[38:39]                  // 00000000685C: D1000015 009A3D1C
	v_perm_b32 v36, v21, v20, s52                              // 000000006864: D1ED0024 00D22915
	v_cmp_u_f32_e64 s[38:39], v38, v38                         // 00000000686C: D0480026 00024D26
	v_add3_u32 v28, v38, v31, 1                                // 000000006874: D1FF001C 02063F26
	v_cndmask_b32_e64 v20, v28, v30, s[38:39]                  // 00000000687C: D1000014 009A3D1C
	v_cmp_u_f32_e64 s[38:39], v39, v39                         // 000000006884: D0480026 00024F27
	v_add3_u32 v28, v39, v31, 1                                // 00000000688C: D1FF001C 02063F27
	v_cndmask_b32_e64 v21, v28, v30, s[38:39]                  // 000000006894: D1000015 009A3D1C
	v_perm_b32 v37, v21, v20, s52                              // 00000000689C: D1ED0025 00D22915
	s_nop 2                                                    // 0000000068A4: BF800002
	v_mov_b32_e32 v22, v17                                     // 0000000068A8: 7E2C0311
	v_mov_b32_e32 v23, v17                                     // 0000000068AC: 7E2E0311
	v_pk_mul_f32 v[148:149], v[22:23], v[148:149]              // 0000000068B0: D3B14094 18032916
	v_pk_mul_f32 v[150:151], v[22:23], v[150:151]              // 0000000068B8: D3B14096 18032D16
	v_pk_mul_f32 v[152:153], v[22:23], v[152:153]              // 0000000068C0: D3B14098 18033116
	v_pk_mul_f32 v[154:155], v[22:23], v[154:155]              // 0000000068C8: D3B1409A 18033516
	v_pk_mul_f32 v[156:157], v[22:23], v[156:157]              // 0000000068D0: D3B1409C 18033916
	v_pk_mul_f32 v[158:159], v[22:23], v[158:159]              // 0000000068D8: D3B1409E 18033D16
	v_pk_mul_f32 v[160:161], v[22:23], v[160:161]              // 0000000068E0: D3B140A0 18034116
	v_pk_mul_f32 v[162:163], v[22:23], v[162:163]              // 0000000068E8: D3B140A2 18034516
	v_pk_mul_f32 v[164:165], v[22:23], v[164:165]              // 0000000068F0: D3B140A4 18034916
	v_pk_mul_f32 v[166:167], v[22:23], v[166:167]              // 0000000068F8: D3B140A6 18034D16
	v_pk_mul_f32 v[168:169], v[22:23], v[168:169]              // 000000006900: D3B140A8 18035116
	v_pk_mul_f32 v[170:171], v[22:23], v[170:171]              // 000000006908: D3B140AA 18035516
	v_pk_mul_f32 v[172:173], v[22:23], v[172:173]              // 000000006910: D3B140AC 18035916
	v_pk_mul_f32 v[174:175], v[22:23], v[174:175]              // 000000006918: D3B140AE 18035D16
	v_pk_mul_f32 v[176:177], v[22:23], v[176:177]              // 000000006920: D3B140B0 18036116
	v_pk_mul_f32 v[178:179], v[22:23], v[178:179]              // 000000006928: D3B140B2 18036516
	v_pk_mul_f32 v[180:181], v[22:23], v[180:181]              // 000000006930: D3B140B4 18036916
	v_pk_mul_f32 v[182:183], v[22:23], v[182:183]              // 000000006938: D3B140B6 18036D16
	v_pk_mul_f32 v[184:185], v[22:23], v[184:185]              // 000000006940: D3B140B8 18037116
	v_pk_mul_f32 v[186:187], v[22:23], v[186:187]              // 000000006948: D3B140BA 18037516
	v_pk_mul_f32 v[188:189], v[22:23], v[188:189]              // 000000006950: D3B140BC 18037916
	v_pk_mul_f32 v[190:191], v[22:23], v[190:191]              // 000000006958: D3B140BE 18037D16
	v_pk_mul_f32 v[192:193], v[22:23], v[192:193]              // 000000006960: D3B140C0 18038116
	v_pk_mul_f32 v[194:195], v[22:23], v[194:195]              // 000000006968: D3B140C2 18038516
	v_pk_mul_f32 v[196:197], v[22:23], v[196:197]              // 000000006970: D3B140C4 18038916
	v_pk_mul_f32 v[198:199], v[22:23], v[198:199]              // 000000006978: D3B140C6 18038D16
	v_pk_mul_f32 v[200:201], v[22:23], v[200:201]              // 000000006980: D3B140C8 18039116
	v_pk_mul_f32 v[202:203], v[22:23], v[202:203]              // 000000006988: D3B140CA 18039516
	v_pk_mul_f32 v[204:205], v[22:23], v[204:205]              // 000000006990: D3B140CC 18039916
	v_pk_mul_f32 v[206:207], v[22:23], v[206:207]              // 000000006998: D3B140CE 18039D16
	v_pk_mul_f32 v[208:209], v[22:23], v[208:209]              // 0000000069A0: D3B140D0 1803A116
	v_pk_mul_f32 v[210:211], v[22:23], v[210:211]              // 0000000069A8: D3B140D2 1803A516
	v_pk_mul_f32 v[212:213], v[22:23], v[212:213]              // 0000000069B0: D3B140D4 1803A916
	v_pk_mul_f32 v[214:215], v[22:23], v[214:215]              // 0000000069B8: D3B140D6 1803AD16
	v_pk_mul_f32 v[216:217], v[22:23], v[216:217]              // 0000000069C0: D3B140D8 1803B116
	v_pk_mul_f32 v[218:219], v[22:23], v[218:219]              // 0000000069C8: D3B140DA 1803B516
	v_pk_mul_f32 v[220:221], v[22:23], v[220:221]              // 0000000069D0: D3B140DC 1803B916
	v_pk_mul_f32 v[222:223], v[22:23], v[222:223]              // 0000000069D8: D3B140DE 1803BD16
	v_pk_mul_f32 v[224:225], v[22:23], v[224:225]              // 0000000069E0: D3B140E0 1803C116
	v_pk_mul_f32 v[226:227], v[22:23], v[226:227]              // 0000000069E8: D3B140E2 1803C516
	v_pk_mul_f32 v[228:229], v[22:23], v[228:229]              // 0000000069F0: D3B140E4 1803C916
	v_pk_mul_f32 v[230:231], v[22:23], v[230:231]              // 0000000069F8: D3B140E6 1803CD16
	v_pk_mul_f32 v[232:233], v[22:23], v[232:233]              // 000000006A00: D3B140E8 1803D116
	v_pk_mul_f32 v[234:235], v[22:23], v[234:235]              // 000000006A08: D3B140EA 1803D516
	v_pk_mul_f32 v[236:237], v[22:23], v[236:237]              // 000000006A10: D3B140EC 1803D916
	v_pk_mul_f32 v[238:239], v[22:23], v[238:239]              // 000000006A18: D3B140EE 1803DD16
	v_pk_mul_f32 v[240:241], v[22:23], v[240:241]              // 000000006A20: D3B140F0 1803E116
	v_pk_mul_f32 v[242:243], v[22:23], v[242:243]              // 000000006A28: D3B140F2 1803E516
	v_pk_mul_f32 v[244:245], v[22:23], v[244:245]              // 000000006A30: D3B140F4 1803E916
	v_pk_mul_f32 v[246:247], v[22:23], v[246:247]              // 000000006A38: D3B140F6 1803ED16
	v_pk_mul_f32 v[248:249], v[22:23], v[248:249]              // 000000006A40: D3B140F8 1803F116
	v_pk_mul_f32 v[250:251], v[22:23], v[250:251]              // 000000006A48: D3B140FA 1803F516
	v_pk_mul_f32 v[252:253], v[22:23], v[252:253]              // 000000006A50: D3B140FC 1803F916
	v_pk_mul_f32 v[254:255], v[22:23], v[254:255]              // 000000006A58: D3B140FE 1803FD16
	v_accvgpr_read_b32 v20, a236                               // 000000006A60: D3D84014 180001EC
	v_accvgpr_read_b32 v21, a237                               // 000000006A68: D3D84015 180001ED
	v_pk_mul_f32 v[20:21], v[22:23], v[20:21]                  // 000000006A70: D3B14014 18022916
	v_accvgpr_write_b32 a236, v20                              // 000000006A78: D3D940EC 18000114
	v_accvgpr_write_b32 a237, v21                              // 000000006A80: D3D940ED 18000115
	v_accvgpr_read_b32 v20, a238                               // 000000006A88: D3D84014 180001EE
	v_accvgpr_read_b32 v21, a239                               // 000000006A90: D3D84015 180001EF
	v_pk_mul_f32 v[20:21], v[22:23], v[20:21]                  // 000000006A98: D3B14014 18022916
	v_accvgpr_write_b32 a238, v20                              // 000000006AA0: D3D940EE 18000114
	v_accvgpr_write_b32 a239, v21                              // 000000006AA8: D3D940EF 18000115
	v_accvgpr_read_b32 v20, a240                               // 000000006AB0: D3D84014 180001F0
	v_accvgpr_read_b32 v21, a241                               // 000000006AB8: D3D84015 180001F1
	v_pk_mul_f32 v[20:21], v[22:23], v[20:21]                  // 000000006AC0: D3B14014 18022916
	v_accvgpr_write_b32 a240, v20                              // 000000006AC8: D3D940F0 18000114
	v_accvgpr_write_b32 a241, v21                              // 000000006AD0: D3D940F1 18000115
	v_accvgpr_read_b32 v20, a242                               // 000000006AD8: D3D84014 180001F2
	v_accvgpr_read_b32 v21, a243                               // 000000006AE0: D3D84015 180001F3
	v_pk_mul_f32 v[20:21], v[22:23], v[20:21]                  // 000000006AE8: D3B14014 18022916
	v_accvgpr_write_b32 a242, v20                              // 000000006AF0: D3D940F2 18000114
	v_accvgpr_write_b32 a243, v21                              // 000000006AF8: D3D940F3 18000115
	v_accvgpr_read_b32 v20, a244                               // 000000006B00: D3D84014 180001F4
	v_accvgpr_read_b32 v21, a245                               // 000000006B08: D3D84015 180001F5
	v_pk_mul_f32 v[20:21], v[22:23], v[20:21]                  // 000000006B10: D3B14014 18022916
	v_accvgpr_write_b32 a244, v20                              // 000000006B18: D3D940F4 18000114
	v_accvgpr_write_b32 a245, v21                              // 000000006B20: D3D940F5 18000115
	v_accvgpr_read_b32 v20, a246                               // 000000006B28: D3D84014 180001F6
	v_accvgpr_read_b32 v21, a247                               // 000000006B30: D3D84015 180001F7
	v_pk_mul_f32 v[20:21], v[22:23], v[20:21]                  // 000000006B38: D3B14014 18022916
	v_accvgpr_write_b32 a246, v20                              // 000000006B40: D3D940F6 18000114
	v_accvgpr_write_b32 a247, v21                              // 000000006B48: D3D940F7 18000115
	v_accvgpr_read_b32 v20, a248                               // 000000006B50: D3D84014 180001F8
	v_accvgpr_read_b32 v21, a249                               // 000000006B58: D3D84015 180001F9
	v_pk_mul_f32 v[20:21], v[22:23], v[20:21]                  // 000000006B60: D3B14014 18022916
	v_accvgpr_write_b32 a248, v20                              // 000000006B68: D3D940F8 18000114
	v_accvgpr_write_b32 a249, v21                              // 000000006B70: D3D940F9 18000115
	v_accvgpr_read_b32 v20, a250                               // 000000006B78: D3D84014 180001FA
	v_accvgpr_read_b32 v21, a251                               // 000000006B80: D3D84015 180001FB
	v_pk_mul_f32 v[20:21], v[22:23], v[20:21]                  // 000000006B88: D3B14014 18022916
	v_accvgpr_write_b32 a250, v20                              // 000000006B90: D3D940FA 18000114
	v_accvgpr_write_b32 a251, v21                              // 000000006B98: D3D940FB 18000115
	v_accvgpr_read_b32 v20, a252                               // 000000006BA0: D3D84014 180001FC
	v_accvgpr_read_b32 v21, a253                               // 000000006BA8: D3D84015 180001FD
	v_pk_mul_f32 v[20:21], v[22:23], v[20:21]                  // 000000006BB0: D3B14014 18022916
	v_accvgpr_write_b32 a252, v20                              // 000000006BB8: D3D940FC 18000114
	v_accvgpr_write_b32 a253, v21                              // 000000006BC0: D3D940FD 18000115
	v_accvgpr_read_b32 v20, a254                               // 000000006BC8: D3D84014 180001FE
	v_accvgpr_read_b32 v21, a255                               // 000000006BD0: D3D84015 180001FF
	v_pk_mul_f32 v[20:21], v[22:23], v[20:21]                  // 000000006BD8: D3B14014 18022916
	v_accvgpr_write_b32 a254, v20                              // 000000006BE0: D3D940FE 18000114
	v_accvgpr_write_b32 a255, v21                              // 000000006BE8: D3D940FF 18000115
	s_waitcnt vmcnt(18) lgkmcnt(0)                             // 000000006BF0: BF8C4072
	s_barrier                                                  // 000000006BF4: BF8A0000
	v_mfma_f32_16x16x16_bf16 v[148:151], a[144:145], v[36:37], v[148:151]// 000000006BF8: D3E10094 0E524990
	ds_read_b64 v[20:21], v5                                   // 000000006C00: D8EC0000 14000005
	ds_read_b64 v[22:23], v5 offset:4640                       // 000000006C08: D8EC1220 16000005
	ds_read_b64 v[24:25], v5 offset:9280                       // 000000006C10: D8EC2440 18000005
	ds_read_b64 v[26:27], v5 offset:13920                      // 000000006C18: D8EC3660 1A000005
	v_mfma_f32_16x16x16_bf16 v[152:155], a[146:147], v[36:37], v[152:155]// 000000006C20: D3E10098 0E624992
	v_mfma_f32_16x16x16_bf16 v[156:159], a[148:149], v[36:37], v[156:159]// 000000006C28: D3E1009C 0E724994
	v_mfma_f32_16x16x16_bf16 v[160:163], a[150:151], v[36:37], v[160:163]// 000000006C30: D3E100A0 0E824996
	v_mfma_f32_16x16x16_bf16 v[164:167], a[152:153], v[36:37], v[164:167]// 000000006C38: D3E100A4 0E924998
	ds_read_b128 a[144:147], v4                                // 000000006C40: DBFE0000 90000004
	ds_read_b128 a[148:151], v4 offset:64                      // 000000006C48: DBFE0040 94000004
	v_mfma_f32_16x16x16_bf16 v[168:171], a[154:155], v[36:37], v[168:171]// 000000006C50: D3E100A8 0EA2499A
	v_mfma_f32_16x16x16_bf16 v[172:175], a[156:157], v[36:37], v[172:175]// 000000006C58: D3E100AC 0EB2499C
	s_waitcnt lgkmcnt(2)                                       // 000000006C60: BF8CC27F
	v_perm_b32 v28, v22, v20, s53                              // 000000006C64: D1ED001C 00D62916
	v_perm_b32 v30, v22, v20, s52                              // 000000006C6C: D1ED001E 00D22916
	v_perm_b32 v29, v26, v24, s53                              // 000000006C74: D1ED001D 00D6311A
	v_perm_b32 v31, v26, v24, s52                              // 000000006C7C: D1ED001F 00D2311A
	v_mfma_f32_16x16x16_bf16 v[176:179], a[158:159], v[36:37], v[176:179]// 000000006C84: D3E100B0 0EC2499E
	v_mfma_f32_16x16x16_bf16 v[180:183], a[160:161], v[36:37], v[180:183]// 000000006C8C: D3E100B4 0ED249A0
	ds_write_b128 v6, v[28:31] offset:37120                    // 000000006C94: D9BE9100 00001C06
	v_mfma_f32_16x16x16_bf16 v[184:187], a[162:163], v[36:37], v[184:187]// 000000006C9C: D3E100B8 0EE249A2
	v_mfma_f32_16x16x16_bf16 v[188:191], a[164:165], v[36:37], v[188:191]// 000000006CA4: D3E100BC 0EF249A4
	v_perm_b32 v28, v23, v21, s53                              // 000000006CAC: D1ED001C 00D62B17
	v_perm_b32 v30, v23, v21, s52                              // 000000006CB4: D1ED001E 00D22B17
	v_perm_b32 v29, v27, v25, s53                              // 000000006CBC: D1ED001D 00D6331B
	v_perm_b32 v31, v27, v25, s52                              // 000000006CC4: D1ED001F 00D2331B
	v_mfma_f32_16x16x16_bf16 v[192:195], a[166:167], v[36:37], v[192:195]// 000000006CCC: D3E100C0 0F0249A6
	v_mfma_f32_16x16x16_bf16 v[196:199], a[168:169], v[36:37], v[196:199]// 000000006CD4: D3E100C4 0F1249A8
	ds_write_b128 v6, v[28:31] offset:38144                    // 000000006CDC: D9BE9500 00001C06
	v_mfma_f32_16x16x16_bf16 v[200:203], a[170:171], v[36:37], v[200:203]// 000000006CE4: D3E100C8 0F2249AA
	v_mfma_f32_16x16x16_bf16 v[204:207], a[172:173], v[36:37], v[204:207]// 000000006CEC: D3E100CC 0F3249AC
	v_mfma_f32_16x16x16_bf16 v[208:211], a[174:175], v[36:37], v[208:211]// 000000006CF4: D3E100D0 0F4249AE
	v_mfma_f32_16x16x16_bf16 v[212:215], a[176:177], v[36:37], v[212:215]// 000000006CFC: D3E100D4 0F5249B0
	ds_read_b64 v[20:21], v5 offset:1024                       // 000000006D04: D8EC0400 14000005
	ds_read_b64 v[22:23], v5 offset:5664                       // 000000006D0C: D8EC1620 16000005
	v_mfma_f32_16x16x16_bf16 v[216:219], a[178:179], v[36:37], v[216:219]// 000000006D14: D3E100D8 0F6249B2
	v_mfma_f32_16x16x16_bf16 v[220:223], a[180:181], v[36:37], v[220:223]// 000000006D1C: D3E100DC 0F7249B4
	ds_read_b64 v[24:25], v5 offset:10304                      // 000000006D24: D8EC2840 18000005
	ds_read_b64 v[26:27], v5 offset:14944                      // 000000006D2C: D8EC3A60 1A000005
	v_mfma_f32_16x16x16_bf16 v[224:227], a[182:183], v[36:37], v[224:227]// 000000006D34: D3E100E0 0F8249B6
	v_mfma_f32_16x16x16_bf16 v[228:231], a[184:185], v[36:37], v[228:231]// 000000006D3C: D3E100E4 0F9249B8
	ds_read_b128 a[152:155], v4 offset:256                     // 000000006D44: DBFE0100 98000004
	ds_read_b128 a[156:159], v4 offset:320                     // 000000006D4C: DBFE0140 9C000004
	v_mfma_f32_16x16x16_bf16 v[232:235], a[186:187], v[36:37], v[232:235]// 000000006D54: D3E100E8 0FA249BA
	v_mfma_f32_16x16x16_bf16 v[236:239], a[188:189], v[36:37], v[236:239]// 000000006D5C: D3E100EC 0FB249BC
	v_mfma_f32_16x16x16_bf16 v[240:243], a[190:191], v[36:37], v[240:243]// 000000006D64: D3E100F0 0FC249BE
	v_mfma_f32_16x16x16_bf16 v[244:247], a[192:193], v[36:37], v[244:247]// 000000006D6C: D3E100F4 0FD249C0
	ds_read_b128 a[160:163], v4 offset:512                     // 000000006D74: DBFE0200 A0000004
	ds_read_b128 a[164:167], v4 offset:576                     // 000000006D7C: DBFE0240 A4000004
	v_mfma_f32_16x16x16_bf16 v[248:251], a[194:195], v[36:37], v[248:251]// 000000006D84: D3E100F8 0FE249C2
	v_mfma_f32_16x16x16_bf16 v[252:255], a[196:197], v[36:37], v[252:255]// 000000006D8C: D3E100FC 0FF249C4
	v_mfma_f32_16x16x16_bf16 a[236:239], a[198:199], v[36:37], a[236:239]// 000000006D94: D3E180EC 0FB249C6
	v_mfma_f32_16x16x16_bf16 a[240:243], a[200:201], v[36:37], a[240:243]// 000000006D9C: D3E180F0 0FC249C8
	ds_read_b128 a[168:171], v4 offset:768                     // 000000006DA4: DBFE0300 A8000004
	ds_read_b128 a[172:175], v4 offset:832                     // 000000006DAC: DBFE0340 AC000004
	v_mfma_f32_16x16x16_bf16 a[244:247], a[202:203], v[36:37], a[244:247]// 000000006DB4: D3E180F4 0FD249CA
	v_mfma_f32_16x16x16_bf16 a[248:251], a[204:205], v[36:37], a[248:251]// 000000006DBC: D3E180F8 0FE249CC
	v_mfma_f32_16x16x16_bf16 a[252:255], a[206:207], v[36:37], a[252:255]// 000000006DC4: D3E180FC 0FF249CE
	s_nop 0                                                    // 000000006DCC: BF800000
	s_addk_i32 s70, 0x1                                        // 000000006DD0: B7460001
	s_cmp_lt_i32 s70, s71                                      // 000000006DD4: BF044746
	s_cbranch_scc0 label_0EFC                                  // 000000006DD8: BF84F785
	s_branch label_0EFF                                        // 000000006DDC: BF82F787

0000000000006de0 <label_1778>:
	s_cmp_eq_i32 s48, 0                                        // 000000006DE0: BF008030
	s_cbranch_scc1 label_1F6D                                  // 000000006DE4: BF8507F3

0000000000006de8 <label_177A>:
	s_and_b32 s56, s71, 1                                      // 000000006DE8: 86388147
	s_cmp_eq_i32 s56, 1                                        // 000000006DEC: BF008138
	s_cbranch_scc1 label_1B75                                  // 000000006DF0: BF8503F8
	s_waitcnt lgkmcnt(4)                                       // 000000006DF4: BF8CC47F
	v_mfma_f32_16x16x16_bf16 v[32:35], a[144:145], a[0:1], 0   // 000000006DF8: D3E10020 1A020190
	ds_read_b128 a[176:179], v4 offset:1024                    // 000000006E00: DBFE0400 B0000004
	ds_read_b128 a[180:183], v4 offset:1088                    // 000000006E08: DBFE0440 B4000004
	v_mfma_f32_16x16x16_bf16 v[32:35], a[146:147], a[2:3], v[32:35]// 000000006E10: D3E10020 1C820592
	v_mfma_f32_16x16x16_bf16 v[32:35], a[148:149], a[4:5], v[32:35]// 000000006E18: D3E10020 1C820994
	v_mfma_f32_16x16x16_bf16 v[32:35], a[150:151], a[6:7], v[32:35]// 000000006E20: D3E10020 1C820D96
	v_mfma_f32_16x16x16_bf16 v[32:35], a[152:153], a[8:9], v[32:35]// 000000006E28: D3E10020 1C821198
	ds_read_b128 a[184:187], v4 offset:1280                    // 000000006E30: DBFE0500 B8000004
	ds_read_b128 a[188:191], v4 offset:1344                    // 000000006E38: DBFE0540 BC000004
	v_mfma_f32_16x16x16_bf16 v[32:35], a[154:155], a[10:11], v[32:35]// 000000006E40: D3E10020 1C82159A
	v_mfma_f32_16x16x16_bf16 v[32:35], a[156:157], a[12:13], v[32:35]// 000000006E48: D3E10020 1C82199C
	v_mfma_f32_16x16x16_bf16 v[32:35], a[158:159], a[14:15], v[32:35]// 000000006E50: D3E10020 1C821D9E
	s_waitcnt lgkmcnt(4)                                       // 000000006E58: BF8CC47F
	v_mfma_f32_16x16x16_bf16 v[32:35], a[160:161], a[16:17], v[32:35]// 000000006E5C: D3E10020 1C8221A0
	ds_read_b128 a[192:195], v4 offset:1536                    // 000000006E64: DBFE0600 C0000004
	ds_read_b128 a[196:199], v4 offset:1600                    // 000000006E6C: DBFE0640 C4000004
	v_mfma_f32_16x16x16_bf16 v[32:35], a[162:163], a[18:19], v[32:35]// 000000006E74: D3E10020 1C8225A2
	v_mfma_f32_16x16x16_bf16 v[32:35], a[164:165], a[20:21], v[32:35]// 000000006E7C: D3E10020 1C8229A4
	v_mfma_f32_16x16x16_bf16 v[32:35], a[166:167], a[22:23], v[32:35]// 000000006E84: D3E10020 1C822DA6
	v_mfma_f32_16x16x16_bf16 v[32:35], a[168:169], a[24:25], v[32:35]// 000000006E8C: D3E10020 1C8231A8
	ds_read_b128 a[200:203], v4 offset:1792                    // 000000006E94: DBFE0700 C8000004
	ds_read_b128 a[204:207], v4 offset:1856                    // 000000006E9C: DBFE0740 CC000004
	v_mfma_f32_16x16x16_bf16 v[32:35], a[170:171], a[26:27], v[32:35]// 000000006EA4: D3E10020 1C8235AA
	v_mfma_f32_16x16x16_bf16 v[32:35], a[172:173], a[28:29], v[32:35]// 000000006EAC: D3E10020 1C8239AC
	v_mfma_f32_16x16x16_bf16 v[32:35], a[174:175], a[30:31], v[32:35]// 000000006EB4: D3E10020 1C823DAE
	s_waitcnt lgkmcnt(4)                                       // 000000006EBC: BF8CC47F
	s_barrier                                                  // 000000006EC0: BF8A0000
	v_mfma_f32_16x16x16_bf16 v[32:35], a[176:177], a[32:33], v[32:35]// 000000006EC4: D3E10020 1C8241B0
	ds_read_b128 a[208:211], v4 offset:2048                    // 000000006ECC: DBFE0800 D0000004
	ds_read_b128 a[212:215], v4 offset:2112                    // 000000006ED4: DBFE0840 D4000004
	v_mfma_f32_16x16x16_bf16 v[32:35], a[178:179], a[34:35], v[32:35]// 000000006EDC: D3E10020 1C8245B2
	v_mfma_f32_16x16x16_bf16 v[32:35], a[180:181], a[36:37], v[32:35]// 000000006EE4: D3E10020 1C8249B4
	v_perm_b32 v28, v22, v20, s53                              // 000000006EEC: D1ED001C 00D62916
	v_perm_b32 v30, v22, v20, s52                              // 000000006EF4: D1ED001E 00D22916
	v_perm_b32 v29, v26, v24, s53                              // 000000006EFC: D1ED001D 00D6311A
	v_perm_b32 v31, v26, v24, s52                              // 000000006F04: D1ED001F 00D2311A
	v_mfma_f32_16x16x16_bf16 v[32:35], a[182:183], a[38:39], v[32:35]// 000000006F0C: D3E10020 1C824DB6
	v_mfma_f32_16x16x16_bf16 v[32:35], a[184:185], a[40:41], v[32:35]// 000000006F14: D3E10020 1C8251B8
	ds_write_b128 v6, v[28:31] offset:45312                    // 000000006F1C: D9BEB100 00001C06
	v_mfma_f32_16x16x16_bf16 v[32:35], a[186:187], a[42:43], v[32:35]// 000000006F24: D3E10020 1C8255BA
	v_mfma_f32_16x16x16_bf16 v[32:35], a[188:189], a[44:45], v[32:35]// 000000006F2C: D3E10020 1C8259BC
	v_perm_b32 v28, v23, v21, s53                              // 000000006F34: D1ED001C 00D62B17
	v_perm_b32 v30, v23, v21, s52                              // 000000006F3C: D1ED001E 00D22B17
	v_perm_b32 v29, v27, v25, s53                              // 000000006F44: D1ED001D 00D6331B
	v_perm_b32 v31, v27, v25, s52                              // 000000006F4C: D1ED001F 00D2331B
	v_mfma_f32_16x16x16_bf16 v[32:35], a[190:191], a[46:47], v[32:35]// 000000006F54: D3E10020 1C825DBE
	s_waitcnt lgkmcnt(1)                                       // 000000006F5C: BF8CC17F
	v_mfma_f32_16x16x16_bf16 v[32:35], a[192:193], a[48:49], v[32:35]// 000000006F60: D3E10020 1C8261C0
	ds_write_b128 v6, v[28:31] offset:46336                    // 000000006F68: D9BEB500 00001C06
	v_mfma_f32_16x16x16_bf16 v[32:35], a[194:195], a[50:51], v[32:35]// 000000006F70: D3E10020 1C8265C2
	v_mfma_f32_16x16x16_bf16 v[32:35], a[196:197], a[52:53], v[32:35]// 000000006F78: D3E10020 1C8269C4
	v_mfma_f32_16x16x16_bf16 v[32:35], a[198:199], a[54:55], v[32:35]// 000000006F80: D3E10020 1C826DC6
	v_mfma_f32_16x16x16_bf16 v[32:35], a[200:201], a[56:57], v[32:35]// 000000006F88: D3E10020 1C8271C8
	v_mfma_f32_16x16x16_bf16 v[32:35], a[202:203], a[58:59], v[32:35]// 000000006F90: D3E10020 1C8275CA
	v_mfma_f32_16x16x16_bf16 v[32:35], a[204:205], a[60:61], v[32:35]// 000000006F98: D3E10020 1C8279CC
	v_mfma_f32_16x16x16_bf16 v[32:35], a[206:207], a[62:63], v[32:35]// 000000006FA0: D3E10020 1C827DCE
	v_mfma_f32_16x16x16_bf16 v[32:35], a[208:209], a[64:65], v[32:35]// 000000006FA8: D3E10020 1C8281D0
	v_mfma_f32_16x16x16_bf16 v[32:35], a[210:211], a[66:67], v[32:35]// 000000006FB0: D3E10020 1C8285D2
	v_mfma_f32_16x16x16_bf16 v[32:35], a[212:213], a[68:69], v[32:35]// 000000006FB8: D3E10020 1C8289D4
	v_mfma_f32_16x16x16_bf16 v[32:35], a[214:215], a[70:71], v[32:35]// 000000006FC0: D3E10020 1C828DD6
	s_waitcnt lgkmcnt(0)                                       // 000000006FC8: BF8CC07F
	s_barrier                                                  // 000000006FCC: BF8A0000
	v_mov_b32_e32 v25, 0xff800000                              // 000000006FD0: 7E3202FF FF800000
	s_and_b32 s56, s48, 0xff                                   // 000000006FD8: 8638FF30 000000FF
	v_mov_b32_e32 v24, s56                                     // 000000006FE0: 7E300238
	v_lshrrev_b32_e32 v20, 4, v0                               // 000000006FE4: 20280084
	v_mul_i32_i24_e32 v20, 4, v20                              // 000000006FE8: 0C282884
	v_add_u32_e32 v21, 1, v20                                  // 000000006FEC: 682A2881
	v_add_u32_e32 v22, 2, v20                                  // 000000006FF0: 682C2882
	v_add_u32_e32 v23, 3, v20                                  // 000000006FF4: 682E2883
	v_cmp_lt_u32_e64 s[38:39], v20, v24                        // 000000006FF8: D0C90026 00023114
	v_add_u32_e32 v20, 64, v20                                 // 000000007000: 682828C0
	s_nop 0                                                    // 000000007004: BF800000
	v_cndmask_b32_e64 v32, v25, v32, s[38:39]                  // 000000007008: D1000020 009A4119
	v_cmp_lt_u32_e64 s[38:39], v21, v24                        // 000000007010: D0C90026 00023115
	v_add_u32_e32 v21, 64, v21                                 // 000000007018: 682A2AC0
	s_nop 0                                                    // 00000000701C: BF800000
	v_cndmask_b32_e64 v33, v25, v33, s[38:39]                  // 000000007020: D1000021 009A4319
	v_cmp_lt_u32_e64 s[38:39], v22, v24                        // 000000007028: D0C90026 00023116
	v_add_u32_e32 v22, 64, v22                                 // 000000007030: 682C2CC0
	s_nop 0                                                    // 000000007034: BF800000
	v_cndmask_b32_e64 v34, v25, v34, s[38:39]                  // 000000007038: D1000022 009A4519
	v_cmp_lt_u32_e64 s[38:39], v23, v24                        // 000000007040: D0C90026 00023117
	v_add_u32_e32 v23, 64, v23                                 // 000000007048: 682E2EC0
	s_nop 0                                                    // 00000000704C: BF800000
	v_cndmask_b32_e64 v35, v25, v35, s[38:39]                  // 000000007050: D1000023 009A4719
	v_mfma_f32_16x16x16_bf16 v[36:39], a[144:145], a[72:73], 0 // 000000007058: D3E10024 1A029190
	v_mfma_f32_16x16x16_bf16 v[36:39], a[146:147], a[74:75], v[36:39]// 000000007060: D3E10024 1C929592
	v_max3_f32 v24, v32, v33, v32                              // 000000007068: D1D30018 04824320
	v_max3_f32 v24, v34, v35, v24                              // 000000007070: D1D30018 04624722
	ds_write_b32 v3, v24 offset:53504                          // 000000007078: D81AD100 00001803
	v_mfma_f32_16x16x16_bf16 v[36:39], a[148:149], a[76:77], v[36:39]// 000000007080: D3E10024 1C929994
	v_mfma_f32_16x16x16_bf16 v[36:39], a[150:151], a[78:79], v[36:39]// 000000007088: D3E10024 1C929D96
	v_mfma_f32_16x16x16_bf16 v[36:39], a[152:153], a[80:81], v[36:39]// 000000007090: D3E10024 1C92A198
	v_mfma_f32_16x16x16_bf16 v[36:39], a[154:155], a[82:83], v[36:39]// 000000007098: D3E10024 1C92A59A
	v_mfma_f32_16x16x16_bf16 v[36:39], a[156:157], a[84:85], v[36:39]// 0000000070A0: D3E10024 1C92A99C
	s_waitcnt lgkmcnt(0)                                       // 0000000070A8: BF8CC07F
	ds_read_b32 v20, v2 offset:53504                           // 0000000070AC: D86CD100 14000002
	ds_read_b32 v21, v2 offset:53568                           // 0000000070B4: D86CD140 15000002
	v_mfma_f32_16x16x16_bf16 v[36:39], a[158:159], a[86:87], v[36:39]// 0000000070BC: D3E10024 1C92AD9E
	ds_read_b32 v22, v2 offset:53632                           // 0000000070C4: D86CD180 16000002
	ds_read_b32 v23, v2 offset:53696                           // 0000000070CC: D86CD1C0 17000002
	v_mfma_f32_16x16x16_bf16 v[36:39], a[160:161], a[88:89], v[36:39]// 0000000070D4: D3E10024 1C92B1A0
	v_mfma_f32_16x16x16_bf16 v[36:39], a[162:163], a[90:91], v[36:39]// 0000000070DC: D3E10024 1C92B5A2
	v_mfma_f32_16x16x16_bf16 v[36:39], a[164:165], a[92:93], v[36:39]// 0000000070E4: D3E10024 1C92B9A4
	v_mfma_f32_16x16x16_bf16 v[36:39], a[166:167], a[94:95], v[36:39]// 0000000070EC: D3E10024 1C92BDA6
	v_mfma_f32_16x16x16_bf16 v[36:39], a[168:169], a[96:97], v[36:39]// 0000000070F4: D3E10024 1C92C1A8
	v_mfma_f32_16x16x16_bf16 v[36:39], a[170:171], a[98:99], v[36:39]// 0000000070FC: D3E10024 1C92C5AA
	v_mfma_f32_16x16x16_bf16 v[36:39], a[172:173], a[100:101], v[36:39]// 000000007104: D3E10024 1C92C9AC
	s_waitcnt lgkmcnt(0)                                       // 00000000710C: BF8CC07F
	v_max3_f32 v24, v20, v21, v24                              // 000000007110: D1D30018 04622B14
	v_max3_f32 v24, v22, v23, v24                              // 000000007118: D1D30018 04622F16
	v_mfma_f32_16x16x16_bf16 v[36:39], a[174:175], a[102:103], v[36:39]// 000000007120: D3E10024 1C92CDAE
	v_mfma_f32_16x16x16_bf16 v[36:39], a[176:177], a[104:105], v[36:39]// 000000007128: D3E10024 1C92D1B0
	v_mfma_f32_16x16x16_bf16 v[36:39], a[178:179], a[106:107], v[36:39]// 000000007130: D3E10024 1C92D5B2
	v_mfma_f32_16x16x16_bf16 v[36:39], a[180:181], a[108:109], v[36:39]// 000000007138: D3E10024 1C92D9B4
	v_mfma_f32_16x16x16_bf16 v[36:39], a[182:183], a[110:111], v[36:39]// 000000007140: D3E10024 1C92DDB6
	v_mfma_f32_16x16x16_bf16 v[36:39], a[184:185], a[112:113], v[36:39]// 000000007148: D3E10024 1C92E1B8
	ds_read_b128 a[144:147], v7 offset:37120                   // 000000007150: DBFE9100 90000007
	ds_read_b128 a[148:151], v7 offset:38144                   // 000000007158: DBFE9500 94000007
	v_mfma_f32_16x16x16_bf16 v[36:39], a[186:187], a[114:115], v[36:39]// 000000007160: D3E10024 1C92E5BA
	v_mfma_f32_16x16x16_bf16 v[36:39], a[188:189], a[116:117], v[36:39]// 000000007168: D3E10024 1C92E9BC
	v_mfma_f32_16x16x16_bf16 v[36:39], a[190:191], a[118:119], v[36:39]// 000000007170: D3E10024 1C92EDBE
	v_mfma_f32_16x16x16_bf16 v[36:39], a[192:193], a[120:121], v[36:39]// 000000007178: D3E10024 1C92F1C0
	ds_read_b128 a[152:155], v7 offset:39168                   // 000000007180: DBFE9900 98000007
	ds_read_b128 a[156:159], v7 offset:40192                   // 000000007188: DBFE9D00 9C000007
	v_mfma_f32_16x16x16_bf16 v[36:39], a[194:195], a[122:123], v[36:39]// 000000007190: D3E10024 1C92F5C2
	v_mfma_f32_16x16x16_bf16 v[36:39], a[196:197], a[124:125], v[36:39]// 000000007198: D3E10024 1C92F9C4
	v_mfma_f32_16x16x16_bf16 v[36:39], a[198:199], a[126:127], v[36:39]// 0000000071A0: D3E10024 1C92FDC6
	v_mfma_f32_16x16x16_bf16 v[36:39], a[200:201], a[128:129], v[36:39]// 0000000071A8: D3E10024 1C9301C8
	ds_read_b128 a[160:163], v7 offset:41216                   // 0000000071B0: DBFEA100 A0000007
	ds_read_b128 a[164:167], v7 offset:42240                   // 0000000071B8: DBFEA500 A4000007
	v_mfma_f32_16x16x16_bf16 v[36:39], a[202:203], a[130:131], v[36:39]// 0000000071C0: D3E10024 1C9305CA
	v_mfma_f32_16x16x16_bf16 v[36:39], a[204:205], a[132:133], v[36:39]// 0000000071C8: D3E10024 1C9309CC
	v_mfma_f32_16x16x16_bf16 v[36:39], a[206:207], a[134:135], v[36:39]// 0000000071D0: D3E10024 1C930DCE
	v_mfma_f32_16x16x16_bf16 v[36:39], a[208:209], a[136:137], v[36:39]// 0000000071D8: D3E10024 1C9311D0
	ds_read_b128 a[168:171], v7 offset:43264                   // 0000000071E0: DBFEA900 A8000007
	ds_read_b128 a[172:175], v7 offset:44288                   // 0000000071E8: DBFEAD00 AC000007
	v_mfma_f32_16x16x16_bf16 v[36:39], a[210:211], a[138:139], v[36:39]// 0000000071F0: D3E10024 1C9315D2
	v_mfma_f32_16x16x16_bf16 v[36:39], a[212:213], a[140:141], v[36:39]// 0000000071F8: D3E10024 1C9319D4
	v_mfma_f32_16x16x16_bf16 v[36:39], a[214:215], a[142:143], v[36:39]// 000000007200: D3E10024 1C931DD6
	v_mov_b32_e32 v25, 0xff7fffff                              // 000000007208: 7E3202FF FF7FFFFF
	v_cmp_eq_u32_e64 s[38:39], v25, v12                        // 000000007210: D0CA0026 00021919
	v_max_f32_e32 v20, v24, v12                                // 000000007218: 16281918
	v_sub_f32_e32 v16, v12, v20                                // 00000000721C: 0420290C
	v_cndmask_b32_e64 v16, v16, 0, s[38:39]                    // 000000007220: D1000010 00990110
	v_mov_b32_e32 v12, v20                                     // 000000007228: 7E180314
	v_mul_f32_e32 v21, s5, v20                                 // 00000000722C: 0A2A2805
	v_mul_f32_e32 v16, s5, v16                                 // 000000007230: 0A202005
	v_exp_f32_e32 v16, v16                                     // 000000007234: 7E204110
	v_fma_f32 v32, v32, s5, -v21                               // 000000007238: D1CB0020 84540B20
	v_fma_f32 v33, v33, s5, -v21                               // 000000007240: D1CB0021 84540B21
	v_fma_f32 v34, v34, s5, -v21                               // 000000007248: D1CB0022 84540B22
	v_fma_f32 v35, v35, s5, -v21                               // 000000007250: D1CB0023 84540B23
	v_exp_f32_e32 v32, v32                                     // 000000007258: 7E404120
	v_exp_f32_e32 v33, v33                                     // 00000000725C: 7E424121
	v_exp_f32_e32 v34, v34                                     // 000000007260: 7E444122
	v_exp_f32_e32 v35, v35                                     // 000000007264: 7E464123
	v_mul_f32_e32 v14, v16, v14                                // 000000007268: 0A1C1D10
	v_mov_b32_e32 v22, v32                                     // 00000000726C: 7E2C0320
	v_add_f32_e32 v22, v33, v22                                // 000000007270: 022C2D21
	v_add_f32_e32 v22, v34, v22                                // 000000007274: 022C2D22
	v_add_f32_e32 v22, v35, v22                                // 000000007278: 022C2D23
	v_add_f32_e32 v14, v22, v14                                // 00000000727C: 021C1D16
	v_mov_b32_e32 v29, 0xffff0000                              // 000000007280: 7E3A02FF FFFF0000
	v_mov_b32_e32 v30, 0x7fff0000                              // 000000007288: 7E3C02FF 7FFF0000
	v_mov_b32_e32 v31, 0x7fff                                  // 000000007290: 7E3E02FF 00007FFF
	v_cmp_u_f32_e64 s[38:39], v32, v32                         // 000000007298: D0480026 00024120
	v_add3_u32 v28, v32, v31, 1                                // 0000000072A0: D1FF001C 02063F20
	v_cndmask_b32_e64 v20, v28, v30, s[38:39]                  // 0000000072A8: D1000014 009A3D1C
	v_cmp_u_f32_e64 s[38:39], v33, v33                         // 0000000072B0: D0480026 00024321
	v_add3_u32 v28, v33, v31, 1                                // 0000000072B8: D1FF001C 02063F21
	v_cndmask_b32_e64 v21, v28, v30, s[38:39]                  // 0000000072C0: D1000015 009A3D1C
	v_perm_b32 v32, v21, v20, s52                              // 0000000072C8: D1ED0020 00D22915
	v_cmp_u_f32_e64 s[38:39], v34, v34                         // 0000000072D0: D0480026 00024522
	v_add3_u32 v28, v34, v31, 1                                // 0000000072D8: D1FF001C 02063F22
	v_cndmask_b32_e64 v20, v28, v30, s[38:39]                  // 0000000072E0: D1000014 009A3D1C
	v_cmp_u_f32_e64 s[38:39], v35, v35                         // 0000000072E8: D0480026 00024723
	v_add3_u32 v28, v35, v31, 1                                // 0000000072F0: D1FF001C 02063F23
	v_cndmask_b32_e64 v21, v28, v30, s[38:39]                  // 0000000072F8: D1000015 009A3D1C
	v_perm_b32 v33, v21, v20, s52                              // 000000007300: D1ED0021 00D22915
	s_nop 2                                                    // 000000007308: BF800002
	v_mov_b32_e32 v22, v16                                     // 00000000730C: 7E2C0310
	v_mov_b32_e32 v23, v16                                     // 000000007310: 7E2E0310
	v_pk_mul_f32 v[40:41], v[22:23], v[40:41]                  // 000000007314: D3B14028 18025116
	v_pk_mul_f32 v[42:43], v[22:23], v[42:43]                  // 00000000731C: D3B1402A 18025516
	v_pk_mul_f32 v[44:45], v[22:23], v[44:45]                  // 000000007324: D3B1402C 18025916
	v_pk_mul_f32 v[46:47], v[22:23], v[46:47]                  // 00000000732C: D3B1402E 18025D16
	v_pk_mul_f32 v[48:49], v[22:23], v[48:49]                  // 000000007334: D3B14030 18026116
	v_pk_mul_f32 v[50:51], v[22:23], v[50:51]                  // 00000000733C: D3B14032 18026516
	v_pk_mul_f32 v[52:53], v[22:23], v[52:53]                  // 000000007344: D3B14034 18026916
	v_pk_mul_f32 v[54:55], v[22:23], v[54:55]                  // 00000000734C: D3B14036 18026D16
	v_pk_mul_f32 v[56:57], v[22:23], v[56:57]                  // 000000007354: D3B14038 18027116
	v_pk_mul_f32 v[58:59], v[22:23], v[58:59]                  // 00000000735C: D3B1403A 18027516
	v_pk_mul_f32 v[60:61], v[22:23], v[60:61]                  // 000000007364: D3B1403C 18027916
	v_pk_mul_f32 v[62:63], v[22:23], v[62:63]                  // 00000000736C: D3B1403E 18027D16
	v_pk_mul_f32 v[64:65], v[22:23], v[64:65]                  // 000000007374: D3B14040 18028116
	v_pk_mul_f32 v[66:67], v[22:23], v[66:67]                  // 00000000737C: D3B14042 18028516
	v_pk_mul_f32 v[68:69], v[22:23], v[68:69]                  // 000000007384: D3B14044 18028916
	v_pk_mul_f32 v[70:71], v[22:23], v[70:71]                  // 00000000738C: D3B14046 18028D16
	v_pk_mul_f32 v[72:73], v[22:23], v[72:73]                  // 000000007394: D3B14048 18029116
	v_pk_mul_f32 v[74:75], v[22:23], v[74:75]                  // 00000000739C: D3B1404A 18029516
	v_pk_mul_f32 v[76:77], v[22:23], v[76:77]                  // 0000000073A4: D3B1404C 18029916
	v_pk_mul_f32 v[78:79], v[22:23], v[78:79]                  // 0000000073AC: D3B1404E 18029D16
	v_pk_mul_f32 v[80:81], v[22:23], v[80:81]                  // 0000000073B4: D3B14050 1802A116
	v_pk_mul_f32 v[82:83], v[22:23], v[82:83]                  // 0000000073BC: D3B14052 1802A516
	v_pk_mul_f32 v[84:85], v[22:23], v[84:85]                  // 0000000073C4: D3B14054 1802A916
	v_pk_mul_f32 v[86:87], v[22:23], v[86:87]                  // 0000000073CC: D3B14056 1802AD16
	v_pk_mul_f32 v[88:89], v[22:23], v[88:89]                  // 0000000073D4: D3B14058 1802B116
	v_pk_mul_f32 v[90:91], v[22:23], v[90:91]                  // 0000000073DC: D3B1405A 1802B516
	v_pk_mul_f32 v[92:93], v[22:23], v[92:93]                  // 0000000073E4: D3B1405C 1802B916
	v_pk_mul_f32 v[94:95], v[22:23], v[94:95]                  // 0000000073EC: D3B1405E 1802BD16
	v_pk_mul_f32 v[96:97], v[22:23], v[96:97]                  // 0000000073F4: D3B14060 1802C116
	v_pk_mul_f32 v[98:99], v[22:23], v[98:99]                  // 0000000073FC: D3B14062 1802C516
	v_pk_mul_f32 v[100:101], v[22:23], v[100:101]              // 000000007404: D3B14064 1802C916
	v_pk_mul_f32 v[102:103], v[22:23], v[102:103]              // 00000000740C: D3B14066 1802CD16
	v_pk_mul_f32 v[104:105], v[22:23], v[104:105]              // 000000007414: D3B14068 1802D116
	v_pk_mul_f32 v[106:107], v[22:23], v[106:107]              // 00000000741C: D3B1406A 1802D516
	v_pk_mul_f32 v[108:109], v[22:23], v[108:109]              // 000000007424: D3B1406C 1802D916
	v_pk_mul_f32 v[110:111], v[22:23], v[110:111]              // 00000000742C: D3B1406E 1802DD16
	v_pk_mul_f32 v[112:113], v[22:23], v[112:113]              // 000000007434: D3B14070 1802E116
	v_pk_mul_f32 v[114:115], v[22:23], v[114:115]              // 00000000743C: D3B14072 1802E516
	v_pk_mul_f32 v[116:117], v[22:23], v[116:117]              // 000000007444: D3B14074 1802E916
	v_pk_mul_f32 v[118:119], v[22:23], v[118:119]              // 00000000744C: D3B14076 1802ED16
	v_pk_mul_f32 v[120:121], v[22:23], v[120:121]              // 000000007454: D3B14078 1802F116
	v_pk_mul_f32 v[122:123], v[22:23], v[122:123]              // 00000000745C: D3B1407A 1802F516
	v_pk_mul_f32 v[124:125], v[22:23], v[124:125]              // 000000007464: D3B1407C 1802F916
	v_pk_mul_f32 v[126:127], v[22:23], v[126:127]              // 00000000746C: D3B1407E 1802FD16
	v_pk_mul_f32 v[128:129], v[22:23], v[128:129]              // 000000007474: D3B14080 18030116
	v_pk_mul_f32 v[130:131], v[22:23], v[130:131]              // 00000000747C: D3B14082 18030516
	v_pk_mul_f32 v[132:133], v[22:23], v[132:133]              // 000000007484: D3B14084 18030916
	v_pk_mul_f32 v[134:135], v[22:23], v[134:135]              // 00000000748C: D3B14086 18030D16
	v_pk_mul_f32 v[136:137], v[22:23], v[136:137]              // 000000007494: D3B14088 18031116
	v_pk_mul_f32 v[138:139], v[22:23], v[138:139]              // 00000000749C: D3B1408A 18031516
	v_pk_mul_f32 v[140:141], v[22:23], v[140:141]              // 0000000074A4: D3B1408C 18031916
	v_pk_mul_f32 v[142:143], v[22:23], v[142:143]              // 0000000074AC: D3B1408E 18031D16
	v_pk_mul_f32 v[144:145], v[22:23], v[144:145]              // 0000000074B4: D3B14090 18032116
	v_pk_mul_f32 v[146:147], v[22:23], v[146:147]              // 0000000074BC: D3B14092 18032516
	v_accvgpr_read_b32 v20, a216                               // 0000000074C4: D3D84014 180001D8
	v_accvgpr_read_b32 v21, a217                               // 0000000074CC: D3D84015 180001D9
	v_pk_mul_f32 v[20:21], v[22:23], v[20:21]                  // 0000000074D4: D3B14014 18022916
	v_accvgpr_write_b32 a216, v20                              // 0000000074DC: D3D940D8 18000114
	v_accvgpr_write_b32 a217, v21                              // 0000000074E4: D3D940D9 18000115
	v_accvgpr_read_b32 v20, a218                               // 0000000074EC: D3D84014 180001DA
	v_accvgpr_read_b32 v21, a219                               // 0000000074F4: D3D84015 180001DB
	v_pk_mul_f32 v[20:21], v[22:23], v[20:21]                  // 0000000074FC: D3B14014 18022916
	v_accvgpr_write_b32 a218, v20                              // 000000007504: D3D940DA 18000114
	v_accvgpr_write_b32 a219, v21                              // 00000000750C: D3D940DB 18000115
	v_accvgpr_read_b32 v20, a220                               // 000000007514: D3D84014 180001DC
	v_accvgpr_read_b32 v21, a221                               // 00000000751C: D3D84015 180001DD
	v_pk_mul_f32 v[20:21], v[22:23], v[20:21]                  // 000000007524: D3B14014 18022916
	v_accvgpr_write_b32 a220, v20                              // 00000000752C: D3D940DC 18000114
	v_accvgpr_write_b32 a221, v21                              // 000000007534: D3D940DD 18000115
	v_accvgpr_read_b32 v20, a222                               // 00000000753C: D3D84014 180001DE
	v_accvgpr_read_b32 v21, a223                               // 000000007544: D3D84015 180001DF
	v_pk_mul_f32 v[20:21], v[22:23], v[20:21]                  // 00000000754C: D3B14014 18022916
	v_accvgpr_write_b32 a222, v20                              // 000000007554: D3D940DE 18000114
	v_accvgpr_write_b32 a223, v21                              // 00000000755C: D3D940DF 18000115
	v_accvgpr_read_b32 v20, a224                               // 000000007564: D3D84014 180001E0
	v_accvgpr_read_b32 v21, a225                               // 00000000756C: D3D84015 180001E1
	v_pk_mul_f32 v[20:21], v[22:23], v[20:21]                  // 000000007574: D3B14014 18022916
	v_accvgpr_write_b32 a224, v20                              // 00000000757C: D3D940E0 18000114
	v_accvgpr_write_b32 a225, v21                              // 000000007584: D3D940E1 18000115
	v_accvgpr_read_b32 v20, a226                               // 00000000758C: D3D84014 180001E2
	v_accvgpr_read_b32 v21, a227                               // 000000007594: D3D84015 180001E3
	v_pk_mul_f32 v[20:21], v[22:23], v[20:21]                  // 00000000759C: D3B14014 18022916
	v_accvgpr_write_b32 a226, v20                              // 0000000075A4: D3D940E2 18000114
	v_accvgpr_write_b32 a227, v21                              // 0000000075AC: D3D940E3 18000115
	v_accvgpr_read_b32 v20, a228                               // 0000000075B4: D3D84014 180001E4
	v_accvgpr_read_b32 v21, a229                               // 0000000075BC: D3D84015 180001E5
	v_pk_mul_f32 v[20:21], v[22:23], v[20:21]                  // 0000000075C4: D3B14014 18022916
	v_accvgpr_write_b32 a228, v20                              // 0000000075CC: D3D940E4 18000114
	v_accvgpr_write_b32 a229, v21                              // 0000000075D4: D3D940E5 18000115
	v_accvgpr_read_b32 v20, a230                               // 0000000075DC: D3D84014 180001E6
	v_accvgpr_read_b32 v21, a231                               // 0000000075E4: D3D84015 180001E7
	v_pk_mul_f32 v[20:21], v[22:23], v[20:21]                  // 0000000075EC: D3B14014 18022916
	v_accvgpr_write_b32 a230, v20                              // 0000000075F4: D3D940E6 18000114
	v_accvgpr_write_b32 a231, v21                              // 0000000075FC: D3D940E7 18000115
	v_accvgpr_read_b32 v20, a232                               // 000000007604: D3D84014 180001E8
	v_accvgpr_read_b32 v21, a233                               // 00000000760C: D3D84015 180001E9
	v_pk_mul_f32 v[20:21], v[22:23], v[20:21]                  // 000000007614: D3B14014 18022916
	v_accvgpr_write_b32 a232, v20                              // 00000000761C: D3D940E8 18000114
	v_accvgpr_write_b32 a233, v21                              // 000000007624: D3D940E9 18000115
	v_accvgpr_read_b32 v20, a234                               // 00000000762C: D3D84014 180001EA
	v_accvgpr_read_b32 v21, a235                               // 000000007634: D3D84015 180001EB
	v_pk_mul_f32 v[20:21], v[22:23], v[20:21]                  // 00000000763C: D3B14014 18022916
	v_accvgpr_write_b32 a234, v20                              // 000000007644: D3D940EA 18000114
	v_accvgpr_write_b32 a235, v21                              // 00000000764C: D3D940EB 18000115
	s_waitcnt lgkmcnt(0)                                       // 000000007654: BF8CC07F
	v_mov_b32_e32 v25, 0xff800000                              // 000000007658: 7E3202FF FF800000
	s_and_b32 s56, s48, 0xff                                   // 000000007660: 8638FF30 000000FF
	v_mov_b32_e32 v24, s56                                     // 000000007668: 7E300238
	v_lshrrev_b32_e32 v20, 4, v0                               // 00000000766C: 20280084
	v_mul_i32_i24_e32 v20, 4, v20                              // 000000007670: 0C282884
	v_add_u32_e32 v21, 1, v20                                  // 000000007674: 682A2881
	v_add_u32_e32 v22, 2, v20                                  // 000000007678: 682C2882
	v_add_u32_e32 v23, 3, v20                                  // 00000000767C: 682E2883
	v_cmp_lt_u32_e64 s[38:39], v20, v24                        // 000000007680: D0C90026 00023114
	v_add_u32_e32 v20, 64, v20                                 // 000000007688: 682828C0
	s_nop 0                                                    // 00000000768C: BF800000
	v_cndmask_b32_e64 v36, v25, v36, s[38:39]                  // 000000007690: D1000024 009A4919
	v_cmp_lt_u32_e64 s[38:39], v21, v24                        // 000000007698: D0C90026 00023115
	v_add_u32_e32 v21, 64, v21                                 // 0000000076A0: 682A2AC0
	s_nop 0                                                    // 0000000076A4: BF800000
	v_cndmask_b32_e64 v37, v25, v37, s[38:39]                  // 0000000076A8: D1000025 009A4B19
	v_cmp_lt_u32_e64 s[38:39], v22, v24                        // 0000000076B0: D0C90026 00023116
	v_add_u32_e32 v22, 64, v22                                 // 0000000076B8: 682C2CC0
	s_nop 0                                                    // 0000000076BC: BF800000
	v_cndmask_b32_e64 v38, v25, v38, s[38:39]                  // 0000000076C0: D1000026 009A4D19
	v_cmp_lt_u32_e64 s[38:39], v23, v24                        // 0000000076C8: D0C90026 00023117
	v_add_u32_e32 v23, 64, v23                                 // 0000000076D0: 682E2EC0
	s_nop 0                                                    // 0000000076D4: BF800000
	v_cndmask_b32_e64 v39, v25, v39, s[38:39]                  // 0000000076D8: D1000027 009A4F19
	v_mfma_f32_16x16x16_bf16 v[40:43], a[144:145], v[32:33], v[40:43]// 0000000076E0: D3E10028 0CA24190
	ds_read_b128 a[176:179], v7 offset:45312                   // 0000000076E8: DBFEB100 B0000007
	ds_read_b128 a[180:183], v7 offset:46336                   // 0000000076F0: DBFEB500 B4000007
	v_mfma_f32_16x16x16_bf16 v[44:47], a[146:147], v[32:33], v[44:47]// 0000000076F8: D3E1002C 0CB24192
	v_mfma_f32_16x16x16_bf16 v[48:51], a[148:149], v[32:33], v[48:51]// 000000007700: D3E10030 0CC24194
	v_mfma_f32_16x16x16_bf16 v[52:55], a[150:151], v[32:33], v[52:55]// 000000007708: D3E10034 0CD24196
	v_mfma_f32_16x16x16_bf16 v[56:59], a[152:153], v[32:33], v[56:59]// 000000007710: D3E10038 0CE24198
	ds_read_b128 a[184:187], v7 offset:47360                   // 000000007718: DBFEB900 B8000007
	ds_read_b128 a[188:191], v7 offset:48384                   // 000000007720: DBFEBD00 BC000007
	v_mfma_f32_16x16x16_bf16 v[60:63], a[154:155], v[32:33], v[60:63]// 000000007728: D3E1003C 0CF2419A
	v_mfma_f32_16x16x16_bf16 v[64:67], a[156:157], v[32:33], v[64:67]// 000000007730: D3E10040 0D02419C
	v_mfma_f32_16x16x16_bf16 v[68:71], a[158:159], v[32:33], v[68:71]// 000000007738: D3E10044 0D12419E
	v_mfma_f32_16x16x16_bf16 v[72:75], a[160:161], v[32:33], v[72:75]// 000000007740: D3E10048 0D2241A0
	ds_read_b128 a[192:195], v7 offset:49408                   // 000000007748: DBFEC100 C0000007
	ds_read_b128 a[196:199], v7 offset:50432                   // 000000007750: DBFEC500 C4000007
	v_mfma_f32_16x16x16_bf16 v[76:79], a[162:163], v[32:33], v[76:79]// 000000007758: D3E1004C 0D3241A2
	v_mfma_f32_16x16x16_bf16 v[80:83], a[164:165], v[32:33], v[80:83]// 000000007760: D3E10050 0D4241A4
	v_mfma_f32_16x16x16_bf16 v[84:87], a[166:167], v[32:33], v[84:87]// 000000007768: D3E10054 0D5241A6
	v_mfma_f32_16x16x16_bf16 v[88:91], a[168:169], v[32:33], v[88:91]// 000000007770: D3E10058 0D6241A8
	ds_read_b128 a[200:203], v7 offset:51456                   // 000000007778: DBFEC900 C8000007
	ds_read_b128 a[204:207], v7 offset:52480                   // 000000007780: DBFECD00 CC000007
	v_mfma_f32_16x16x16_bf16 v[92:95], a[170:171], v[32:33], v[92:95]// 000000007788: D3E1005C 0D7241AA
	v_mfma_f32_16x16x16_bf16 v[96:99], a[172:173], v[32:33], v[96:99]// 000000007790: D3E10060 0D8241AC
	v_mfma_f32_16x16x16_bf16 v[100:103], a[174:175], v[32:33], v[100:103]// 000000007798: D3E10064 0D9241AE
	s_waitcnt lgkmcnt(4)                                       // 0000000077A0: BF8CC47F
	v_mfma_f32_16x16x16_bf16 v[104:107], a[176:177], v[32:33], v[104:107]// 0000000077A4: D3E10068 0DA241B0
	v_max3_f32 v24, v36, v37, v36                              // 0000000077AC: D1D30018 04924B24
	v_max3_f32 v24, v38, v39, v24                              // 0000000077B4: D1D30018 04624F26
	ds_write_b32 v3, v24 offset:54528                          // 0000000077BC: D81AD500 00001803
	v_mfma_f32_16x16x16_bf16 v[108:111], a[178:179], v[32:33], v[108:111]// 0000000077C4: D3E1006C 0DB241B2
	v_mfma_f32_16x16x16_bf16 v[112:115], a[180:181], v[32:33], v[112:115]// 0000000077CC: D3E10070 0DC241B4
	v_mfma_f32_16x16x16_bf16 v[116:119], a[182:183], v[32:33], v[116:119]// 0000000077D4: D3E10074 0DD241B6
	v_mfma_f32_16x16x16_bf16 v[120:123], a[184:185], v[32:33], v[120:123]// 0000000077DC: D3E10078 0DE241B8
	v_mfma_f32_16x16x16_bf16 v[124:127], a[186:187], v[32:33], v[124:127]// 0000000077E4: D3E1007C 0DF241BA
	v_mfma_f32_16x16x16_bf16 v[128:131], a[188:189], v[32:33], v[128:131]// 0000000077EC: D3E10080 0E0241BC
	v_mfma_f32_16x16x16_bf16 v[132:135], a[190:191], v[32:33], v[132:135]// 0000000077F4: D3E10084 0E1241BE
	s_waitcnt lgkmcnt(0)                                       // 0000000077FC: BF8CC07F
	v_mfma_f32_16x16x16_bf16 v[136:139], a[192:193], v[32:33], v[136:139]// 000000007800: D3E10088 0E2241C0
	s_waitcnt lgkmcnt(0)                                       // 000000007808: BF8CC07F
	ds_read_b32 v20, v2 offset:54528                           // 00000000780C: D86CD500 14000002
	ds_read_b32 v21, v2 offset:54592                           // 000000007814: D86CD540 15000002
	v_mfma_f32_16x16x16_bf16 v[140:143], a[194:195], v[32:33], v[140:143]// 00000000781C: D3E1008C 0E3241C2
	ds_read_b32 v22, v2 offset:54656                           // 000000007824: D86CD580 16000002
	ds_read_b32 v23, v2 offset:54720                           // 00000000782C: D86CD5C0 17000002
	v_mfma_f32_16x16x16_bf16 v[144:147], a[196:197], v[32:33], v[144:147]// 000000007834: D3E10090 0E4241C4
	v_mfma_f32_16x16x16_bf16 a[216:219], a[198:199], v[32:33], a[216:219]// 00000000783C: D3E180D8 0F6241C6
	v_mfma_f32_16x16x16_bf16 a[220:223], a[200:201], v[32:33], a[220:223]// 000000007844: D3E180DC 0F7241C8
	v_mfma_f32_16x16x16_bf16 a[224:227], a[202:203], v[32:33], a[224:227]// 00000000784C: D3E180E0 0F8241CA
	v_mfma_f32_16x16x16_bf16 a[228:231], a[204:205], v[32:33], a[228:231]// 000000007854: D3E180E4 0F9241CC
	v_mfma_f32_16x16x16_bf16 a[232:235], a[206:207], v[32:33], a[232:235]// 00000000785C: D3E180E8 0FA241CE
	s_waitcnt lgkmcnt(0)                                       // 000000007864: BF8CC07F
	v_max3_f32 v24, v20, v21, v24                              // 000000007868: D1D30018 04622B14
	v_max3_f32 v24, v22, v23, v24                              // 000000007870: D1D30018 04622F16
	v_mov_b32_e32 v25, 0xff7fffff                              // 000000007878: 7E3202FF FF7FFFFF
	v_cmp_eq_u32_e64 s[38:39], v25, v13                        // 000000007880: D0CA0026 00021B19
	v_max_f32_e32 v20, v24, v13                                // 000000007888: 16281B18
	v_sub_f32_e32 v17, v13, v20                                // 00000000788C: 0422290D
	v_cndmask_b32_e64 v17, v17, 0, s[38:39]                    // 000000007890: D1000011 00990111
	v_mov_b32_e32 v13, v20                                     // 000000007898: 7E1A0314
	v_mul_f32_e32 v21, s5, v20                                 // 00000000789C: 0A2A2805
	v_mul_f32_e32 v17, s5, v17                                 // 0000000078A0: 0A222205
	v_exp_f32_e32 v17, v17                                     // 0000000078A4: 7E224111
	v_fma_f32 v36, v36, s5, -v21                               // 0000000078A8: D1CB0024 84540B24
	v_fma_f32 v37, v37, s5, -v21                               // 0000000078B0: D1CB0025 84540B25
	v_fma_f32 v38, v38, s5, -v21                               // 0000000078B8: D1CB0026 84540B26
	v_fma_f32 v39, v39, s5, -v21                               // 0000000078C0: D1CB0027 84540B27
	v_exp_f32_e32 v36, v36                                     // 0000000078C8: 7E484124
	v_exp_f32_e32 v37, v37                                     // 0000000078CC: 7E4A4125
	v_exp_f32_e32 v38, v38                                     // 0000000078D0: 7E4C4126
	v_exp_f32_e32 v39, v39                                     // 0000000078D4: 7E4E4127
	v_mul_f32_e32 v15, v17, v15                                // 0000000078D8: 0A1E1F11
	v_mov_b32_e32 v22, v36                                     // 0000000078DC: 7E2C0324
	v_add_f32_e32 v22, v37, v22                                // 0000000078E0: 022C2D25
	v_add_f32_e32 v22, v38, v22                                // 0000000078E4: 022C2D26
	v_add_f32_e32 v22, v39, v22                                // 0000000078E8: 022C2D27
	v_add_f32_e32 v15, v22, v15                                // 0000000078EC: 021E1F16
	v_mov_b32_e32 v29, 0xffff0000                              // 0000000078F0: 7E3A02FF FFFF0000
	v_mov_b32_e32 v30, 0x7fff0000                              // 0000000078F8: 7E3C02FF 7FFF0000
	v_mov_b32_e32 v31, 0x7fff                                  // 000000007900: 7E3E02FF 00007FFF
	v_cmp_u_f32_e64 s[38:39], v36, v36                         // 000000007908: D0480026 00024924
	v_add3_u32 v28, v36, v31, 1                                // 000000007910: D1FF001C 02063F24
	v_cndmask_b32_e64 v20, v28, v30, s[38:39]                  // 000000007918: D1000014 009A3D1C
	v_cmp_u_f32_e64 s[38:39], v37, v37                         // 000000007920: D0480026 00024B25
	v_add3_u32 v28, v37, v31, 1                                // 000000007928: D1FF001C 02063F25
	v_cndmask_b32_e64 v21, v28, v30, s[38:39]                  // 000000007930: D1000015 009A3D1C
	v_perm_b32 v36, v21, v20, s52                              // 000000007938: D1ED0024 00D22915
	v_cmp_u_f32_e64 s[38:39], v38, v38                         // 000000007940: D0480026 00024D26
	v_add3_u32 v28, v38, v31, 1                                // 000000007948: D1FF001C 02063F26
	v_cndmask_b32_e64 v20, v28, v30, s[38:39]                  // 000000007950: D1000014 009A3D1C
	v_cmp_u_f32_e64 s[38:39], v39, v39                         // 000000007958: D0480026 00024F27
	v_add3_u32 v28, v39, v31, 1                                // 000000007960: D1FF001C 02063F27
	v_cndmask_b32_e64 v21, v28, v30, s[38:39]                  // 000000007968: D1000015 009A3D1C
	v_perm_b32 v37, v21, v20, s52                              // 000000007970: D1ED0025 00D22915
	s_nop 2                                                    // 000000007978: BF800002
	v_mov_b32_e32 v22, v17                                     // 00000000797C: 7E2C0311
	v_mov_b32_e32 v23, v17                                     // 000000007980: 7E2E0311
	v_pk_mul_f32 v[148:149], v[22:23], v[148:149]              // 000000007984: D3B14094 18032916
	v_pk_mul_f32 v[150:151], v[22:23], v[150:151]              // 00000000798C: D3B14096 18032D16
	v_pk_mul_f32 v[152:153], v[22:23], v[152:153]              // 000000007994: D3B14098 18033116
	v_pk_mul_f32 v[154:155], v[22:23], v[154:155]              // 00000000799C: D3B1409A 18033516
	v_pk_mul_f32 v[156:157], v[22:23], v[156:157]              // 0000000079A4: D3B1409C 18033916
	v_pk_mul_f32 v[158:159], v[22:23], v[158:159]              // 0000000079AC: D3B1409E 18033D16
	v_pk_mul_f32 v[160:161], v[22:23], v[160:161]              // 0000000079B4: D3B140A0 18034116
	v_pk_mul_f32 v[162:163], v[22:23], v[162:163]              // 0000000079BC: D3B140A2 18034516
	v_pk_mul_f32 v[164:165], v[22:23], v[164:165]              // 0000000079C4: D3B140A4 18034916
	v_pk_mul_f32 v[166:167], v[22:23], v[166:167]              // 0000000079CC: D3B140A6 18034D16
	v_pk_mul_f32 v[168:169], v[22:23], v[168:169]              // 0000000079D4: D3B140A8 18035116
	v_pk_mul_f32 v[170:171], v[22:23], v[170:171]              // 0000000079DC: D3B140AA 18035516
	v_pk_mul_f32 v[172:173], v[22:23], v[172:173]              // 0000000079E4: D3B140AC 18035916
	v_pk_mul_f32 v[174:175], v[22:23], v[174:175]              // 0000000079EC: D3B140AE 18035D16
	v_pk_mul_f32 v[176:177], v[22:23], v[176:177]              // 0000000079F4: D3B140B0 18036116
	v_pk_mul_f32 v[178:179], v[22:23], v[178:179]              // 0000000079FC: D3B140B2 18036516
	v_pk_mul_f32 v[180:181], v[22:23], v[180:181]              // 000000007A04: D3B140B4 18036916
	v_pk_mul_f32 v[182:183], v[22:23], v[182:183]              // 000000007A0C: D3B140B6 18036D16
	v_pk_mul_f32 v[184:185], v[22:23], v[184:185]              // 000000007A14: D3B140B8 18037116
	v_pk_mul_f32 v[186:187], v[22:23], v[186:187]              // 000000007A1C: D3B140BA 18037516
	v_pk_mul_f32 v[188:189], v[22:23], v[188:189]              // 000000007A24: D3B140BC 18037916
	v_pk_mul_f32 v[190:191], v[22:23], v[190:191]              // 000000007A2C: D3B140BE 18037D16
	v_pk_mul_f32 v[192:193], v[22:23], v[192:193]              // 000000007A34: D3B140C0 18038116
	v_pk_mul_f32 v[194:195], v[22:23], v[194:195]              // 000000007A3C: D3B140C2 18038516
	v_pk_mul_f32 v[196:197], v[22:23], v[196:197]              // 000000007A44: D3B140C4 18038916
	v_pk_mul_f32 v[198:199], v[22:23], v[198:199]              // 000000007A4C: D3B140C6 18038D16
	v_pk_mul_f32 v[200:201], v[22:23], v[200:201]              // 000000007A54: D3B140C8 18039116
	v_pk_mul_f32 v[202:203], v[22:23], v[202:203]              // 000000007A5C: D3B140CA 18039516
	v_pk_mul_f32 v[204:205], v[22:23], v[204:205]              // 000000007A64: D3B140CC 18039916
	v_pk_mul_f32 v[206:207], v[22:23], v[206:207]              // 000000007A6C: D3B140CE 18039D16
	v_pk_mul_f32 v[208:209], v[22:23], v[208:209]              // 000000007A74: D3B140D0 1803A116
	v_pk_mul_f32 v[210:211], v[22:23], v[210:211]              // 000000007A7C: D3B140D2 1803A516
	v_pk_mul_f32 v[212:213], v[22:23], v[212:213]              // 000000007A84: D3B140D4 1803A916
	v_pk_mul_f32 v[214:215], v[22:23], v[214:215]              // 000000007A8C: D3B140D6 1803AD16
	v_pk_mul_f32 v[216:217], v[22:23], v[216:217]              // 000000007A94: D3B140D8 1803B116
	v_pk_mul_f32 v[218:219], v[22:23], v[218:219]              // 000000007A9C: D3B140DA 1803B516
	v_pk_mul_f32 v[220:221], v[22:23], v[220:221]              // 000000007AA4: D3B140DC 1803B916
	v_pk_mul_f32 v[222:223], v[22:23], v[222:223]              // 000000007AAC: D3B140DE 1803BD16
	v_pk_mul_f32 v[224:225], v[22:23], v[224:225]              // 000000007AB4: D3B140E0 1803C116
	v_pk_mul_f32 v[226:227], v[22:23], v[226:227]              // 000000007ABC: D3B140E2 1803C516
	v_pk_mul_f32 v[228:229], v[22:23], v[228:229]              // 000000007AC4: D3B140E4 1803C916
	v_pk_mul_f32 v[230:231], v[22:23], v[230:231]              // 000000007ACC: D3B140E6 1803CD16
	v_pk_mul_f32 v[232:233], v[22:23], v[232:233]              // 000000007AD4: D3B140E8 1803D116
	v_pk_mul_f32 v[234:235], v[22:23], v[234:235]              // 000000007ADC: D3B140EA 1803D516
	v_pk_mul_f32 v[236:237], v[22:23], v[236:237]              // 000000007AE4: D3B140EC 1803D916
	v_pk_mul_f32 v[238:239], v[22:23], v[238:239]              // 000000007AEC: D3B140EE 1803DD16
	v_pk_mul_f32 v[240:241], v[22:23], v[240:241]              // 000000007AF4: D3B140F0 1803E116
	v_pk_mul_f32 v[242:243], v[22:23], v[242:243]              // 000000007AFC: D3B140F2 1803E516
	v_pk_mul_f32 v[244:245], v[22:23], v[244:245]              // 000000007B04: D3B140F4 1803E916
	v_pk_mul_f32 v[246:247], v[22:23], v[246:247]              // 000000007B0C: D3B140F6 1803ED16
	v_pk_mul_f32 v[248:249], v[22:23], v[248:249]              // 000000007B14: D3B140F8 1803F116
	v_pk_mul_f32 v[250:251], v[22:23], v[250:251]              // 000000007B1C: D3B140FA 1803F516
	v_pk_mul_f32 v[252:253], v[22:23], v[252:253]              // 000000007B24: D3B140FC 1803F916
	v_pk_mul_f32 v[254:255], v[22:23], v[254:255]              // 000000007B2C: D3B140FE 1803FD16
	v_accvgpr_read_b32 v20, a236                               // 000000007B34: D3D84014 180001EC
	v_accvgpr_read_b32 v21, a237                               // 000000007B3C: D3D84015 180001ED
	v_pk_mul_f32 v[20:21], v[22:23], v[20:21]                  // 000000007B44: D3B14014 18022916
	v_accvgpr_write_b32 a236, v20                              // 000000007B4C: D3D940EC 18000114
	v_accvgpr_write_b32 a237, v21                              // 000000007B54: D3D940ED 18000115
	v_accvgpr_read_b32 v20, a238                               // 000000007B5C: D3D84014 180001EE
	v_accvgpr_read_b32 v21, a239                               // 000000007B64: D3D84015 180001EF
	v_pk_mul_f32 v[20:21], v[22:23], v[20:21]                  // 000000007B6C: D3B14014 18022916
	v_accvgpr_write_b32 a238, v20                              // 000000007B74: D3D940EE 18000114
	v_accvgpr_write_b32 a239, v21                              // 000000007B7C: D3D940EF 18000115
	v_accvgpr_read_b32 v20, a240                               // 000000007B84: D3D84014 180001F0
	v_accvgpr_read_b32 v21, a241                               // 000000007B8C: D3D84015 180001F1
	v_pk_mul_f32 v[20:21], v[22:23], v[20:21]                  // 000000007B94: D3B14014 18022916
	v_accvgpr_write_b32 a240, v20                              // 000000007B9C: D3D940F0 18000114
	v_accvgpr_write_b32 a241, v21                              // 000000007BA4: D3D940F1 18000115
	v_accvgpr_read_b32 v20, a242                               // 000000007BAC: D3D84014 180001F2
	v_accvgpr_read_b32 v21, a243                               // 000000007BB4: D3D84015 180001F3
	v_pk_mul_f32 v[20:21], v[22:23], v[20:21]                  // 000000007BBC: D3B14014 18022916
	v_accvgpr_write_b32 a242, v20                              // 000000007BC4: D3D940F2 18000114
	v_accvgpr_write_b32 a243, v21                              // 000000007BCC: D3D940F3 18000115
	v_accvgpr_read_b32 v20, a244                               // 000000007BD4: D3D84014 180001F4
	v_accvgpr_read_b32 v21, a245                               // 000000007BDC: D3D84015 180001F5
	v_pk_mul_f32 v[20:21], v[22:23], v[20:21]                  // 000000007BE4: D3B14014 18022916
	v_accvgpr_write_b32 a244, v20                              // 000000007BEC: D3D940F4 18000114
	v_accvgpr_write_b32 a245, v21                              // 000000007BF4: D3D940F5 18000115
	v_accvgpr_read_b32 v20, a246                               // 000000007BFC: D3D84014 180001F6
	v_accvgpr_read_b32 v21, a247                               // 000000007C04: D3D84015 180001F7
	v_pk_mul_f32 v[20:21], v[22:23], v[20:21]                  // 000000007C0C: D3B14014 18022916
	v_accvgpr_write_b32 a246, v20                              // 000000007C14: D3D940F6 18000114
	v_accvgpr_write_b32 a247, v21                              // 000000007C1C: D3D940F7 18000115
	v_accvgpr_read_b32 v20, a248                               // 000000007C24: D3D84014 180001F8
	v_accvgpr_read_b32 v21, a249                               // 000000007C2C: D3D84015 180001F9
	v_pk_mul_f32 v[20:21], v[22:23], v[20:21]                  // 000000007C34: D3B14014 18022916
	v_accvgpr_write_b32 a248, v20                              // 000000007C3C: D3D940F8 18000114
	v_accvgpr_write_b32 a249, v21                              // 000000007C44: D3D940F9 18000115
	v_accvgpr_read_b32 v20, a250                               // 000000007C4C: D3D84014 180001FA
	v_accvgpr_read_b32 v21, a251                               // 000000007C54: D3D84015 180001FB
	v_pk_mul_f32 v[20:21], v[22:23], v[20:21]                  // 000000007C5C: D3B14014 18022916
	v_accvgpr_write_b32 a250, v20                              // 000000007C64: D3D940FA 18000114
	v_accvgpr_write_b32 a251, v21                              // 000000007C6C: D3D940FB 18000115
	v_accvgpr_read_b32 v20, a252                               // 000000007C74: D3D84014 180001FC
	v_accvgpr_read_b32 v21, a253                               // 000000007C7C: D3D84015 180001FD
	v_pk_mul_f32 v[20:21], v[22:23], v[20:21]                  // 000000007C84: D3B14014 18022916
	v_accvgpr_write_b32 a252, v20                              // 000000007C8C: D3D940FC 18000114
	v_accvgpr_write_b32 a253, v21                              // 000000007C94: D3D940FD 18000115
	v_accvgpr_read_b32 v20, a254                               // 000000007C9C: D3D84014 180001FE
	v_accvgpr_read_b32 v21, a255                               // 000000007CA4: D3D84015 180001FF
	v_pk_mul_f32 v[20:21], v[22:23], v[20:21]                  // 000000007CAC: D3B14014 18022916
	v_accvgpr_write_b32 a254, v20                              // 000000007CB4: D3D940FE 18000114
	v_accvgpr_write_b32 a255, v21                              // 000000007CBC: D3D940FF 18000115
	s_waitcnt vmcnt(18) lgkmcnt(0)                             // 000000007CC4: BF8C4072
	s_barrier                                                  // 000000007CC8: BF8A0000
	v_mfma_f32_16x16x16_bf16 v[148:151], a[144:145], v[36:37], v[148:151]// 000000007CCC: D3E10094 0E524990
	v_mfma_f32_16x16x16_bf16 v[152:155], a[146:147], v[36:37], v[152:155]// 000000007CD4: D3E10098 0E624992
	v_mfma_f32_16x16x16_bf16 v[156:159], a[148:149], v[36:37], v[156:159]// 000000007CDC: D3E1009C 0E724994
	v_mfma_f32_16x16x16_bf16 v[160:163], a[150:151], v[36:37], v[160:163]// 000000007CE4: D3E100A0 0E824996
	v_mfma_f32_16x16x16_bf16 v[164:167], a[152:153], v[36:37], v[164:167]// 000000007CEC: D3E100A4 0E924998
	v_mfma_f32_16x16x16_bf16 v[168:171], a[154:155], v[36:37], v[168:171]// 000000007CF4: D3E100A8 0EA2499A
	v_mfma_f32_16x16x16_bf16 v[172:175], a[156:157], v[36:37], v[172:175]// 000000007CFC: D3E100AC 0EB2499C
	v_mfma_f32_16x16x16_bf16 v[176:179], a[158:159], v[36:37], v[176:179]// 000000007D04: D3E100B0 0EC2499E
	v_mfma_f32_16x16x16_bf16 v[180:183], a[160:161], v[36:37], v[180:183]// 000000007D0C: D3E100B4 0ED249A0
	v_mfma_f32_16x16x16_bf16 v[184:187], a[162:163], v[36:37], v[184:187]// 000000007D14: D3E100B8 0EE249A2
	v_mfma_f32_16x16x16_bf16 v[188:191], a[164:165], v[36:37], v[188:191]// 000000007D1C: D3E100BC 0EF249A4
	v_mfma_f32_16x16x16_bf16 v[192:195], a[166:167], v[36:37], v[192:195]// 000000007D24: D3E100C0 0F0249A6
	v_mfma_f32_16x16x16_bf16 v[196:199], a[168:169], v[36:37], v[196:199]// 000000007D2C: D3E100C4 0F1249A8
	v_mfma_f32_16x16x16_bf16 v[200:203], a[170:171], v[36:37], v[200:203]// 000000007D34: D3E100C8 0F2249AA
	v_mfma_f32_16x16x16_bf16 v[204:207], a[172:173], v[36:37], v[204:207]// 000000007D3C: D3E100CC 0F3249AC
	v_mfma_f32_16x16x16_bf16 v[208:211], a[174:175], v[36:37], v[208:211]// 000000007D44: D3E100D0 0F4249AE
	v_mfma_f32_16x16x16_bf16 v[212:215], a[176:177], v[36:37], v[212:215]// 000000007D4C: D3E100D4 0F5249B0
	v_mfma_f32_16x16x16_bf16 v[216:219], a[178:179], v[36:37], v[216:219]// 000000007D54: D3E100D8 0F6249B2
	v_mfma_f32_16x16x16_bf16 v[220:223], a[180:181], v[36:37], v[220:223]// 000000007D5C: D3E100DC 0F7249B4
	v_mfma_f32_16x16x16_bf16 v[224:227], a[182:183], v[36:37], v[224:227]// 000000007D64: D3E100E0 0F8249B6
	v_mfma_f32_16x16x16_bf16 v[228:231], a[184:185], v[36:37], v[228:231]// 000000007D6C: D3E100E4 0F9249B8
	v_mfma_f32_16x16x16_bf16 v[232:235], a[186:187], v[36:37], v[232:235]// 000000007D74: D3E100E8 0FA249BA
	v_mfma_f32_16x16x16_bf16 v[236:239], a[188:189], v[36:37], v[236:239]// 000000007D7C: D3E100EC 0FB249BC
	v_mfma_f32_16x16x16_bf16 v[240:243], a[190:191], v[36:37], v[240:243]// 000000007D84: D3E100F0 0FC249BE
	v_mfma_f32_16x16x16_bf16 v[244:247], a[192:193], v[36:37], v[244:247]// 000000007D8C: D3E100F4 0FD249C0
	v_mfma_f32_16x16x16_bf16 v[248:251], a[194:195], v[36:37], v[248:251]// 000000007D94: D3E100F8 0FE249C2
	v_mfma_f32_16x16x16_bf16 v[252:255], a[196:197], v[36:37], v[252:255]// 000000007D9C: D3E100FC 0FF249C4
	v_mfma_f32_16x16x16_bf16 a[236:239], a[198:199], v[36:37], a[236:239]// 000000007DA4: D3E180EC 0FB249C6
	v_mfma_f32_16x16x16_bf16 a[240:243], a[200:201], v[36:37], a[240:243]// 000000007DAC: D3E180F0 0FC249C8
	v_mfma_f32_16x16x16_bf16 a[244:247], a[202:203], v[36:37], a[244:247]// 000000007DB4: D3E180F4 0FD249CA
	v_mfma_f32_16x16x16_bf16 a[248:251], a[204:205], v[36:37], a[248:251]// 000000007DBC: D3E180F8 0FE249CC
	v_mfma_f32_16x16x16_bf16 a[252:255], a[206:207], v[36:37], a[252:255]// 000000007DC4: D3E180FC 0FF249CE
	s_nop 8                                                    // 000000007DCC: BF800008
	s_branch label_1F6D                                        // 000000007DD0: BF8203F8

0000000000007dd4 <label_1B75>:
	s_waitcnt lgkmcnt(4)                                       // 000000007DD4: BF8CC47F
	v_mfma_f32_16x16x16_bf16 v[32:35], a[144:145], a[0:1], 0   // 000000007DD8: D3E10020 1A020190
	ds_read_b128 a[176:179], v4 offset:19584                   // 000000007DE0: DBFE4C80 B0000004
	ds_read_b128 a[180:183], v4 offset:19648                   // 000000007DE8: DBFE4CC0 B4000004
	v_mfma_f32_16x16x16_bf16 v[32:35], a[146:147], a[2:3], v[32:35]// 000000007DF0: D3E10020 1C820592
	v_mfma_f32_16x16x16_bf16 v[32:35], a[148:149], a[4:5], v[32:35]// 000000007DF8: D3E10020 1C820994
	v_mfma_f32_16x16x16_bf16 v[32:35], a[150:151], a[6:7], v[32:35]// 000000007E00: D3E10020 1C820D96
	v_mfma_f32_16x16x16_bf16 v[32:35], a[152:153], a[8:9], v[32:35]// 000000007E08: D3E10020 1C821198
	ds_read_b128 a[184:187], v4 offset:19840                   // 000000007E10: DBFE4D80 B8000004
	ds_read_b128 a[188:191], v4 offset:19904                   // 000000007E18: DBFE4DC0 BC000004
	v_mfma_f32_16x16x16_bf16 v[32:35], a[154:155], a[10:11], v[32:35]// 000000007E20: D3E10020 1C82159A
	v_mfma_f32_16x16x16_bf16 v[32:35], a[156:157], a[12:13], v[32:35]// 000000007E28: D3E10020 1C82199C
	v_mfma_f32_16x16x16_bf16 v[32:35], a[158:159], a[14:15], v[32:35]// 000000007E30: D3E10020 1C821D9E
	s_waitcnt lgkmcnt(4)                                       // 000000007E38: BF8CC47F
	v_mfma_f32_16x16x16_bf16 v[32:35], a[160:161], a[16:17], v[32:35]// 000000007E3C: D3E10020 1C8221A0
	ds_read_b128 a[192:195], v4 offset:20096                   // 000000007E44: DBFE4E80 C0000004
	ds_read_b128 a[196:199], v4 offset:20160                   // 000000007E4C: DBFE4EC0 C4000004
	v_mfma_f32_16x16x16_bf16 v[32:35], a[162:163], a[18:19], v[32:35]// 000000007E54: D3E10020 1C8225A2
	v_mfma_f32_16x16x16_bf16 v[32:35], a[164:165], a[20:21], v[32:35]// 000000007E5C: D3E10020 1C8229A4
	v_mfma_f32_16x16x16_bf16 v[32:35], a[166:167], a[22:23], v[32:35]// 000000007E64: D3E10020 1C822DA6
	v_mfma_f32_16x16x16_bf16 v[32:35], a[168:169], a[24:25], v[32:35]// 000000007E6C: D3E10020 1C8231A8
	ds_read_b128 a[200:203], v4 offset:20352                   // 000000007E74: DBFE4F80 C8000004
	ds_read_b128 a[204:207], v4 offset:20416                   // 000000007E7C: DBFE4FC0 CC000004
	v_mfma_f32_16x16x16_bf16 v[32:35], a[170:171], a[26:27], v[32:35]// 000000007E84: D3E10020 1C8235AA
	v_mfma_f32_16x16x16_bf16 v[32:35], a[172:173], a[28:29], v[32:35]// 000000007E8C: D3E10020 1C8239AC
	v_mfma_f32_16x16x16_bf16 v[32:35], a[174:175], a[30:31], v[32:35]// 000000007E94: D3E10020 1C823DAE
	s_waitcnt lgkmcnt(4)                                       // 000000007E9C: BF8CC47F
	s_barrier                                                  // 000000007EA0: BF8A0000
	v_mfma_f32_16x16x16_bf16 v[32:35], a[176:177], a[32:33], v[32:35]// 000000007EA4: D3E10020 1C8241B0
	ds_read_b128 a[208:211], v4 offset:20608                   // 000000007EAC: DBFE5080 D0000004
	ds_read_b128 a[212:215], v4 offset:20672                   // 000000007EB4: DBFE50C0 D4000004
	v_mfma_f32_16x16x16_bf16 v[32:35], a[178:179], a[34:35], v[32:35]// 000000007EBC: D3E10020 1C8245B2
	v_mfma_f32_16x16x16_bf16 v[32:35], a[180:181], a[36:37], v[32:35]// 000000007EC4: D3E10020 1C8249B4
	v_perm_b32 v28, v22, v20, s53                              // 000000007ECC: D1ED001C 00D62916
	v_perm_b32 v30, v22, v20, s52                              // 000000007ED4: D1ED001E 00D22916
	v_perm_b32 v29, v26, v24, s53                              // 000000007EDC: D1ED001D 00D6311A
	v_perm_b32 v31, v26, v24, s52                              // 000000007EE4: D1ED001F 00D2311A
	v_mfma_f32_16x16x16_bf16 v[32:35], a[182:183], a[38:39], v[32:35]// 000000007EEC: D3E10020 1C824DB6
	v_mfma_f32_16x16x16_bf16 v[32:35], a[184:185], a[40:41], v[32:35]// 000000007EF4: D3E10020 1C8251B8
	ds_write_b128 v6, v[28:31] offset:45312                    // 000000007EFC: D9BEB100 00001C06
	v_mfma_f32_16x16x16_bf16 v[32:35], a[186:187], a[42:43], v[32:35]// 000000007F04: D3E10020 1C8255BA
	v_mfma_f32_16x16x16_bf16 v[32:35], a[188:189], a[44:45], v[32:35]// 000000007F0C: D3E10020 1C8259BC
	v_perm_b32 v28, v23, v21, s53                              // 000000007F14: D1ED001C 00D62B17
	v_perm_b32 v30, v23, v21, s52                              // 000000007F1C: D1ED001E 00D22B17
	v_perm_b32 v29, v27, v25, s53                              // 000000007F24: D1ED001D 00D6331B
	v_perm_b32 v31, v27, v25, s52                              // 000000007F2C: D1ED001F 00D2331B
	v_mfma_f32_16x16x16_bf16 v[32:35], a[190:191], a[46:47], v[32:35]// 000000007F34: D3E10020 1C825DBE
	s_waitcnt lgkmcnt(1)                                       // 000000007F3C: BF8CC17F
	v_mfma_f32_16x16x16_bf16 v[32:35], a[192:193], a[48:49], v[32:35]// 000000007F40: D3E10020 1C8261C0
	ds_write_b128 v6, v[28:31] offset:46336                    // 000000007F48: D9BEB500 00001C06
	v_mfma_f32_16x16x16_bf16 v[32:35], a[194:195], a[50:51], v[32:35]// 000000007F50: D3E10020 1C8265C2
	v_mfma_f32_16x16x16_bf16 v[32:35], a[196:197], a[52:53], v[32:35]// 000000007F58: D3E10020 1C8269C4
	v_mfma_f32_16x16x16_bf16 v[32:35], a[198:199], a[54:55], v[32:35]// 000000007F60: D3E10020 1C826DC6
	v_mfma_f32_16x16x16_bf16 v[32:35], a[200:201], a[56:57], v[32:35]// 000000007F68: D3E10020 1C8271C8
	v_mfma_f32_16x16x16_bf16 v[32:35], a[202:203], a[58:59], v[32:35]// 000000007F70: D3E10020 1C8275CA
	v_mfma_f32_16x16x16_bf16 v[32:35], a[204:205], a[60:61], v[32:35]// 000000007F78: D3E10020 1C8279CC
	v_mfma_f32_16x16x16_bf16 v[32:35], a[206:207], a[62:63], v[32:35]// 000000007F80: D3E10020 1C827DCE
	v_mfma_f32_16x16x16_bf16 v[32:35], a[208:209], a[64:65], v[32:35]// 000000007F88: D3E10020 1C8281D0
	v_mfma_f32_16x16x16_bf16 v[32:35], a[210:211], a[66:67], v[32:35]// 000000007F90: D3E10020 1C8285D2
	v_mfma_f32_16x16x16_bf16 v[32:35], a[212:213], a[68:69], v[32:35]// 000000007F98: D3E10020 1C8289D4
	v_mfma_f32_16x16x16_bf16 v[32:35], a[214:215], a[70:71], v[32:35]// 000000007FA0: D3E10020 1C828DD6
	s_waitcnt lgkmcnt(0)                                       // 000000007FA8: BF8CC07F
	s_barrier                                                  // 000000007FAC: BF8A0000
	v_mov_b32_e32 v25, 0xff800000                              // 000000007FB0: 7E3202FF FF800000
	s_and_b32 s56, s48, 0xff                                   // 000000007FB8: 8638FF30 000000FF
	v_mov_b32_e32 v24, s56                                     // 000000007FC0: 7E300238
	v_lshrrev_b32_e32 v20, 4, v0                               // 000000007FC4: 20280084
	v_mul_i32_i24_e32 v20, 4, v20                              // 000000007FC8: 0C282884
	v_add_u32_e32 v21, 1, v20                                  // 000000007FCC: 682A2881
	v_add_u32_e32 v22, 2, v20                                  // 000000007FD0: 682C2882
	v_add_u32_e32 v23, 3, v20                                  // 000000007FD4: 682E2883
	v_cmp_lt_u32_e64 s[38:39], v20, v24                        // 000000007FD8: D0C90026 00023114
	v_add_u32_e32 v20, 64, v20                                 // 000000007FE0: 682828C0
	s_nop 0                                                    // 000000007FE4: BF800000
	v_cndmask_b32_e64 v32, v25, v32, s[38:39]                  // 000000007FE8: D1000020 009A4119
	v_cmp_lt_u32_e64 s[38:39], v21, v24                        // 000000007FF0: D0C90026 00023115
	v_add_u32_e32 v21, 64, v21                                 // 000000007FF8: 682A2AC0
	s_nop 0                                                    // 000000007FFC: BF800000
	v_cndmask_b32_e64 v33, v25, v33, s[38:39]                  // 000000008000: D1000021 009A4319
	v_cmp_lt_u32_e64 s[38:39], v22, v24                        // 000000008008: D0C90026 00023116
	v_add_u32_e32 v22, 64, v22                                 // 000000008010: 682C2CC0
	s_nop 0                                                    // 000000008014: BF800000
	v_cndmask_b32_e64 v34, v25, v34, s[38:39]                  // 000000008018: D1000022 009A4519
	v_cmp_lt_u32_e64 s[38:39], v23, v24                        // 000000008020: D0C90026 00023117
	v_add_u32_e32 v23, 64, v23                                 // 000000008028: 682E2EC0
	s_nop 0                                                    // 00000000802C: BF800000
	v_cndmask_b32_e64 v35, v25, v35, s[38:39]                  // 000000008030: D1000023 009A4719
	v_mfma_f32_16x16x16_bf16 v[36:39], a[144:145], a[72:73], 0 // 000000008038: D3E10024 1A029190
	v_mfma_f32_16x16x16_bf16 v[36:39], a[146:147], a[74:75], v[36:39]// 000000008040: D3E10024 1C929592
	v_max3_f32 v24, v32, v33, v32                              // 000000008048: D1D30018 04824320
	v_max3_f32 v24, v34, v35, v24                              // 000000008050: D1D30018 04624722
	ds_write_b32 v3, v24 offset:53504                          // 000000008058: D81AD100 00001803
	v_mfma_f32_16x16x16_bf16 v[36:39], a[148:149], a[76:77], v[36:39]// 000000008060: D3E10024 1C929994
	v_mfma_f32_16x16x16_bf16 v[36:39], a[150:151], a[78:79], v[36:39]// 000000008068: D3E10024 1C929D96
	v_mfma_f32_16x16x16_bf16 v[36:39], a[152:153], a[80:81], v[36:39]// 000000008070: D3E10024 1C92A198
	v_mfma_f32_16x16x16_bf16 v[36:39], a[154:155], a[82:83], v[36:39]// 000000008078: D3E10024 1C92A59A
	v_mfma_f32_16x16x16_bf16 v[36:39], a[156:157], a[84:85], v[36:39]// 000000008080: D3E10024 1C92A99C
	s_waitcnt lgkmcnt(0)                                       // 000000008088: BF8CC07F
	ds_read_b32 v20, v2 offset:53504                           // 00000000808C: D86CD100 14000002
	ds_read_b32 v21, v2 offset:53568                           // 000000008094: D86CD140 15000002
	v_mfma_f32_16x16x16_bf16 v[36:39], a[158:159], a[86:87], v[36:39]// 00000000809C: D3E10024 1C92AD9E
	ds_read_b32 v22, v2 offset:53632                           // 0000000080A4: D86CD180 16000002
	ds_read_b32 v23, v2 offset:53696                           // 0000000080AC: D86CD1C0 17000002
	v_mfma_f32_16x16x16_bf16 v[36:39], a[160:161], a[88:89], v[36:39]// 0000000080B4: D3E10024 1C92B1A0
	v_mfma_f32_16x16x16_bf16 v[36:39], a[162:163], a[90:91], v[36:39]// 0000000080BC: D3E10024 1C92B5A2
	v_mfma_f32_16x16x16_bf16 v[36:39], a[164:165], a[92:93], v[36:39]// 0000000080C4: D3E10024 1C92B9A4
	v_mfma_f32_16x16x16_bf16 v[36:39], a[166:167], a[94:95], v[36:39]// 0000000080CC: D3E10024 1C92BDA6
	v_mfma_f32_16x16x16_bf16 v[36:39], a[168:169], a[96:97], v[36:39]// 0000000080D4: D3E10024 1C92C1A8
	v_mfma_f32_16x16x16_bf16 v[36:39], a[170:171], a[98:99], v[36:39]// 0000000080DC: D3E10024 1C92C5AA
	v_mfma_f32_16x16x16_bf16 v[36:39], a[172:173], a[100:101], v[36:39]// 0000000080E4: D3E10024 1C92C9AC
	s_waitcnt lgkmcnt(0)                                       // 0000000080EC: BF8CC07F
	v_max3_f32 v24, v20, v21, v24                              // 0000000080F0: D1D30018 04622B14
	v_max3_f32 v24, v22, v23, v24                              // 0000000080F8: D1D30018 04622F16
	v_mfma_f32_16x16x16_bf16 v[36:39], a[174:175], a[102:103], v[36:39]// 000000008100: D3E10024 1C92CDAE
	v_mfma_f32_16x16x16_bf16 v[36:39], a[176:177], a[104:105], v[36:39]// 000000008108: D3E10024 1C92D1B0
	v_mfma_f32_16x16x16_bf16 v[36:39], a[178:179], a[106:107], v[36:39]// 000000008110: D3E10024 1C92D5B2
	v_mfma_f32_16x16x16_bf16 v[36:39], a[180:181], a[108:109], v[36:39]// 000000008118: D3E10024 1C92D9B4
	v_mfma_f32_16x16x16_bf16 v[36:39], a[182:183], a[110:111], v[36:39]// 000000008120: D3E10024 1C92DDB6
	v_mfma_f32_16x16x16_bf16 v[36:39], a[184:185], a[112:113], v[36:39]// 000000008128: D3E10024 1C92E1B8
	ds_read_b128 a[144:147], v7 offset:37120                   // 000000008130: DBFE9100 90000007
	ds_read_b128 a[148:151], v7 offset:38144                   // 000000008138: DBFE9500 94000007
	v_mfma_f32_16x16x16_bf16 v[36:39], a[186:187], a[114:115], v[36:39]// 000000008140: D3E10024 1C92E5BA
	v_mfma_f32_16x16x16_bf16 v[36:39], a[188:189], a[116:117], v[36:39]// 000000008148: D3E10024 1C92E9BC
	v_mfma_f32_16x16x16_bf16 v[36:39], a[190:191], a[118:119], v[36:39]// 000000008150: D3E10024 1C92EDBE
	v_mfma_f32_16x16x16_bf16 v[36:39], a[192:193], a[120:121], v[36:39]// 000000008158: D3E10024 1C92F1C0
	ds_read_b128 a[152:155], v7 offset:39168                   // 000000008160: DBFE9900 98000007
	ds_read_b128 a[156:159], v7 offset:40192                   // 000000008168: DBFE9D00 9C000007
	v_mfma_f32_16x16x16_bf16 v[36:39], a[194:195], a[122:123], v[36:39]// 000000008170: D3E10024 1C92F5C2
	v_mfma_f32_16x16x16_bf16 v[36:39], a[196:197], a[124:125], v[36:39]// 000000008178: D3E10024 1C92F9C4
	v_mfma_f32_16x16x16_bf16 v[36:39], a[198:199], a[126:127], v[36:39]// 000000008180: D3E10024 1C92FDC6
	v_mfma_f32_16x16x16_bf16 v[36:39], a[200:201], a[128:129], v[36:39]// 000000008188: D3E10024 1C9301C8
	ds_read_b128 a[160:163], v7 offset:41216                   // 000000008190: DBFEA100 A0000007
	ds_read_b128 a[164:167], v7 offset:42240                   // 000000008198: DBFEA500 A4000007
	v_mfma_f32_16x16x16_bf16 v[36:39], a[202:203], a[130:131], v[36:39]// 0000000081A0: D3E10024 1C9305CA
	v_mfma_f32_16x16x16_bf16 v[36:39], a[204:205], a[132:133], v[36:39]// 0000000081A8: D3E10024 1C9309CC
	v_mfma_f32_16x16x16_bf16 v[36:39], a[206:207], a[134:135], v[36:39]// 0000000081B0: D3E10024 1C930DCE
	v_mfma_f32_16x16x16_bf16 v[36:39], a[208:209], a[136:137], v[36:39]// 0000000081B8: D3E10024 1C9311D0
	ds_read_b128 a[168:171], v7 offset:43264                   // 0000000081C0: DBFEA900 A8000007
	ds_read_b128 a[172:175], v7 offset:44288                   // 0000000081C8: DBFEAD00 AC000007
	v_mfma_f32_16x16x16_bf16 v[36:39], a[210:211], a[138:139], v[36:39]// 0000000081D0: D3E10024 1C9315D2
	v_mfma_f32_16x16x16_bf16 v[36:39], a[212:213], a[140:141], v[36:39]// 0000000081D8: D3E10024 1C9319D4
	v_mfma_f32_16x16x16_bf16 v[36:39], a[214:215], a[142:143], v[36:39]// 0000000081E0: D3E10024 1C931DD6
	v_mov_b32_e32 v25, 0xff7fffff                              // 0000000081E8: 7E3202FF FF7FFFFF
	v_cmp_eq_u32_e64 s[38:39], v25, v12                        // 0000000081F0: D0CA0026 00021919
	v_max_f32_e32 v20, v24, v12                                // 0000000081F8: 16281918
	v_sub_f32_e32 v16, v12, v20                                // 0000000081FC: 0420290C
	v_cndmask_b32_e64 v16, v16, 0, s[38:39]                    // 000000008200: D1000010 00990110
	v_mov_b32_e32 v12, v20                                     // 000000008208: 7E180314
	v_mul_f32_e32 v21, s5, v20                                 // 00000000820C: 0A2A2805
	v_mul_f32_e32 v16, s5, v16                                 // 000000008210: 0A202005
	v_exp_f32_e32 v16, v16                                     // 000000008214: 7E204110
	v_fma_f32 v32, v32, s5, -v21                               // 000000008218: D1CB0020 84540B20
	v_fma_f32 v33, v33, s5, -v21                               // 000000008220: D1CB0021 84540B21
	v_fma_f32 v34, v34, s5, -v21                               // 000000008228: D1CB0022 84540B22
	v_fma_f32 v35, v35, s5, -v21                               // 000000008230: D1CB0023 84540B23
	v_exp_f32_e32 v32, v32                                     // 000000008238: 7E404120
	v_exp_f32_e32 v33, v33                                     // 00000000823C: 7E424121
	v_exp_f32_e32 v34, v34                                     // 000000008240: 7E444122
	v_exp_f32_e32 v35, v35                                     // 000000008244: 7E464123
	v_mul_f32_e32 v14, v16, v14                                // 000000008248: 0A1C1D10
	v_mov_b32_e32 v22, v32                                     // 00000000824C: 7E2C0320
	v_add_f32_e32 v22, v33, v22                                // 000000008250: 022C2D21
	v_add_f32_e32 v22, v34, v22                                // 000000008254: 022C2D22
	v_add_f32_e32 v22, v35, v22                                // 000000008258: 022C2D23
	v_add_f32_e32 v14, v22, v14                                // 00000000825C: 021C1D16
	v_mov_b32_e32 v29, 0xffff0000                              // 000000008260: 7E3A02FF FFFF0000
	v_mov_b32_e32 v30, 0x7fff0000                              // 000000008268: 7E3C02FF 7FFF0000
	v_mov_b32_e32 v31, 0x7fff                                  // 000000008270: 7E3E02FF 00007FFF
	v_cmp_u_f32_e64 s[38:39], v32, v32                         // 000000008278: D0480026 00024120
	v_add3_u32 v28, v32, v31, 1                                // 000000008280: D1FF001C 02063F20
	v_cndmask_b32_e64 v20, v28, v30, s[38:39]                  // 000000008288: D1000014 009A3D1C
	v_cmp_u_f32_e64 s[38:39], v33, v33                         // 000000008290: D0480026 00024321
	v_add3_u32 v28, v33, v31, 1                                // 000000008298: D1FF001C 02063F21
	v_cndmask_b32_e64 v21, v28, v30, s[38:39]                  // 0000000082A0: D1000015 009A3D1C
	v_perm_b32 v32, v21, v20, s52                              // 0000000082A8: D1ED0020 00D22915
	v_cmp_u_f32_e64 s[38:39], v34, v34                         // 0000000082B0: D0480026 00024522
	v_add3_u32 v28, v34, v31, 1                                // 0000000082B8: D1FF001C 02063F22
	v_cndmask_b32_e64 v20, v28, v30, s[38:39]                  // 0000000082C0: D1000014 009A3D1C
	v_cmp_u_f32_e64 s[38:39], v35, v35                         // 0000000082C8: D0480026 00024723
	v_add3_u32 v28, v35, v31, 1                                // 0000000082D0: D1FF001C 02063F23
	v_cndmask_b32_e64 v21, v28, v30, s[38:39]                  // 0000000082D8: D1000015 009A3D1C
	v_perm_b32 v33, v21, v20, s52                              // 0000000082E0: D1ED0021 00D22915
	s_nop 2                                                    // 0000000082E8: BF800002
	v_mov_b32_e32 v22, v16                                     // 0000000082EC: 7E2C0310
	v_mov_b32_e32 v23, v16                                     // 0000000082F0: 7E2E0310
	v_pk_mul_f32 v[40:41], v[22:23], v[40:41]                  // 0000000082F4: D3B14028 18025116
	v_pk_mul_f32 v[42:43], v[22:23], v[42:43]                  // 0000000082FC: D3B1402A 18025516
	v_pk_mul_f32 v[44:45], v[22:23], v[44:45]                  // 000000008304: D3B1402C 18025916
	v_pk_mul_f32 v[46:47], v[22:23], v[46:47]                  // 00000000830C: D3B1402E 18025D16
	v_pk_mul_f32 v[48:49], v[22:23], v[48:49]                  // 000000008314: D3B14030 18026116
	v_pk_mul_f32 v[50:51], v[22:23], v[50:51]                  // 00000000831C: D3B14032 18026516
	v_pk_mul_f32 v[52:53], v[22:23], v[52:53]                  // 000000008324: D3B14034 18026916
	v_pk_mul_f32 v[54:55], v[22:23], v[54:55]                  // 00000000832C: D3B14036 18026D16
	v_pk_mul_f32 v[56:57], v[22:23], v[56:57]                  // 000000008334: D3B14038 18027116
	v_pk_mul_f32 v[58:59], v[22:23], v[58:59]                  // 00000000833C: D3B1403A 18027516
	v_pk_mul_f32 v[60:61], v[22:23], v[60:61]                  // 000000008344: D3B1403C 18027916
	v_pk_mul_f32 v[62:63], v[22:23], v[62:63]                  // 00000000834C: D3B1403E 18027D16
	v_pk_mul_f32 v[64:65], v[22:23], v[64:65]                  // 000000008354: D3B14040 18028116
	v_pk_mul_f32 v[66:67], v[22:23], v[66:67]                  // 00000000835C: D3B14042 18028516
	v_pk_mul_f32 v[68:69], v[22:23], v[68:69]                  // 000000008364: D3B14044 18028916
	v_pk_mul_f32 v[70:71], v[22:23], v[70:71]                  // 00000000836C: D3B14046 18028D16
	v_pk_mul_f32 v[72:73], v[22:23], v[72:73]                  // 000000008374: D3B14048 18029116
	v_pk_mul_f32 v[74:75], v[22:23], v[74:75]                  // 00000000837C: D3B1404A 18029516
	v_pk_mul_f32 v[76:77], v[22:23], v[76:77]                  // 000000008384: D3B1404C 18029916
	v_pk_mul_f32 v[78:79], v[22:23], v[78:79]                  // 00000000838C: D3B1404E 18029D16
	v_pk_mul_f32 v[80:81], v[22:23], v[80:81]                  // 000000008394: D3B14050 1802A116
	v_pk_mul_f32 v[82:83], v[22:23], v[82:83]                  // 00000000839C: D3B14052 1802A516
	v_pk_mul_f32 v[84:85], v[22:23], v[84:85]                  // 0000000083A4: D3B14054 1802A916
	v_pk_mul_f32 v[86:87], v[22:23], v[86:87]                  // 0000000083AC: D3B14056 1802AD16
	v_pk_mul_f32 v[88:89], v[22:23], v[88:89]                  // 0000000083B4: D3B14058 1802B116
	v_pk_mul_f32 v[90:91], v[22:23], v[90:91]                  // 0000000083BC: D3B1405A 1802B516
	v_pk_mul_f32 v[92:93], v[22:23], v[92:93]                  // 0000000083C4: D3B1405C 1802B916
	v_pk_mul_f32 v[94:95], v[22:23], v[94:95]                  // 0000000083CC: D3B1405E 1802BD16
	v_pk_mul_f32 v[96:97], v[22:23], v[96:97]                  // 0000000083D4: D3B14060 1802C116
	v_pk_mul_f32 v[98:99], v[22:23], v[98:99]                  // 0000000083DC: D3B14062 1802C516
	v_pk_mul_f32 v[100:101], v[22:23], v[100:101]              // 0000000083E4: D3B14064 1802C916
	v_pk_mul_f32 v[102:103], v[22:23], v[102:103]              // 0000000083EC: D3B14066 1802CD16
	v_pk_mul_f32 v[104:105], v[22:23], v[104:105]              // 0000000083F4: D3B14068 1802D116
	v_pk_mul_f32 v[106:107], v[22:23], v[106:107]              // 0000000083FC: D3B1406A 1802D516
	v_pk_mul_f32 v[108:109], v[22:23], v[108:109]              // 000000008404: D3B1406C 1802D916
	v_pk_mul_f32 v[110:111], v[22:23], v[110:111]              // 00000000840C: D3B1406E 1802DD16
	v_pk_mul_f32 v[112:113], v[22:23], v[112:113]              // 000000008414: D3B14070 1802E116
	v_pk_mul_f32 v[114:115], v[22:23], v[114:115]              // 00000000841C: D3B14072 1802E516
	v_pk_mul_f32 v[116:117], v[22:23], v[116:117]              // 000000008424: D3B14074 1802E916
	v_pk_mul_f32 v[118:119], v[22:23], v[118:119]              // 00000000842C: D3B14076 1802ED16
	v_pk_mul_f32 v[120:121], v[22:23], v[120:121]              // 000000008434: D3B14078 1802F116
	v_pk_mul_f32 v[122:123], v[22:23], v[122:123]              // 00000000843C: D3B1407A 1802F516
	v_pk_mul_f32 v[124:125], v[22:23], v[124:125]              // 000000008444: D3B1407C 1802F916
	v_pk_mul_f32 v[126:127], v[22:23], v[126:127]              // 00000000844C: D3B1407E 1802FD16
	v_pk_mul_f32 v[128:129], v[22:23], v[128:129]              // 000000008454: D3B14080 18030116
	v_pk_mul_f32 v[130:131], v[22:23], v[130:131]              // 00000000845C: D3B14082 18030516
	v_pk_mul_f32 v[132:133], v[22:23], v[132:133]              // 000000008464: D3B14084 18030916
	v_pk_mul_f32 v[134:135], v[22:23], v[134:135]              // 00000000846C: D3B14086 18030D16
	v_pk_mul_f32 v[136:137], v[22:23], v[136:137]              // 000000008474: D3B14088 18031116
	v_pk_mul_f32 v[138:139], v[22:23], v[138:139]              // 00000000847C: D3B1408A 18031516
	v_pk_mul_f32 v[140:141], v[22:23], v[140:141]              // 000000008484: D3B1408C 18031916
	v_pk_mul_f32 v[142:143], v[22:23], v[142:143]              // 00000000848C: D3B1408E 18031D16
	v_pk_mul_f32 v[144:145], v[22:23], v[144:145]              // 000000008494: D3B14090 18032116
	v_pk_mul_f32 v[146:147], v[22:23], v[146:147]              // 00000000849C: D3B14092 18032516
	v_accvgpr_read_b32 v20, a216                               // 0000000084A4: D3D84014 180001D8
	v_accvgpr_read_b32 v21, a217                               // 0000000084AC: D3D84015 180001D9
	v_pk_mul_f32 v[20:21], v[22:23], v[20:21]                  // 0000000084B4: D3B14014 18022916
	v_accvgpr_write_b32 a216, v20                              // 0000000084BC: D3D940D8 18000114
	v_accvgpr_write_b32 a217, v21                              // 0000000084C4: D3D940D9 18000115
	v_accvgpr_read_b32 v20, a218                               // 0000000084CC: D3D84014 180001DA
	v_accvgpr_read_b32 v21, a219                               // 0000000084D4: D3D84015 180001DB
	v_pk_mul_f32 v[20:21], v[22:23], v[20:21]                  // 0000000084DC: D3B14014 18022916
	v_accvgpr_write_b32 a218, v20                              // 0000000084E4: D3D940DA 18000114
	v_accvgpr_write_b32 a219, v21                              // 0000000084EC: D3D940DB 18000115
	v_accvgpr_read_b32 v20, a220                               // 0000000084F4: D3D84014 180001DC
	v_accvgpr_read_b32 v21, a221                               // 0000000084FC: D3D84015 180001DD
	v_pk_mul_f32 v[20:21], v[22:23], v[20:21]                  // 000000008504: D3B14014 18022916
	v_accvgpr_write_b32 a220, v20                              // 00000000850C: D3D940DC 18000114
	v_accvgpr_write_b32 a221, v21                              // 000000008514: D3D940DD 18000115
	v_accvgpr_read_b32 v20, a222                               // 00000000851C: D3D84014 180001DE
	v_accvgpr_read_b32 v21, a223                               // 000000008524: D3D84015 180001DF
	v_pk_mul_f32 v[20:21], v[22:23], v[20:21]                  // 00000000852C: D3B14014 18022916
	v_accvgpr_write_b32 a222, v20                              // 000000008534: D3D940DE 18000114
	v_accvgpr_write_b32 a223, v21                              // 00000000853C: D3D940DF 18000115
	v_accvgpr_read_b32 v20, a224                               // 000000008544: D3D84014 180001E0
	v_accvgpr_read_b32 v21, a225                               // 00000000854C: D3D84015 180001E1
	v_pk_mul_f32 v[20:21], v[22:23], v[20:21]                  // 000000008554: D3B14014 18022916
	v_accvgpr_write_b32 a224, v20                              // 00000000855C: D3D940E0 18000114
	v_accvgpr_write_b32 a225, v21                              // 000000008564: D3D940E1 18000115
	v_accvgpr_read_b32 v20, a226                               // 00000000856C: D3D84014 180001E2
	v_accvgpr_read_b32 v21, a227                               // 000000008574: D3D84015 180001E3
	v_pk_mul_f32 v[20:21], v[22:23], v[20:21]                  // 00000000857C: D3B14014 18022916
	v_accvgpr_write_b32 a226, v20                              // 000000008584: D3D940E2 18000114
	v_accvgpr_write_b32 a227, v21                              // 00000000858C: D3D940E3 18000115
	v_accvgpr_read_b32 v20, a228                               // 000000008594: D3D84014 180001E4
	v_accvgpr_read_b32 v21, a229                               // 00000000859C: D3D84015 180001E5
	v_pk_mul_f32 v[20:21], v[22:23], v[20:21]                  // 0000000085A4: D3B14014 18022916
	v_accvgpr_write_b32 a228, v20                              // 0000000085AC: D3D940E4 18000114
	v_accvgpr_write_b32 a229, v21                              // 0000000085B4: D3D940E5 18000115
	v_accvgpr_read_b32 v20, a230                               // 0000000085BC: D3D84014 180001E6
	v_accvgpr_read_b32 v21, a231                               // 0000000085C4: D3D84015 180001E7
	v_pk_mul_f32 v[20:21], v[22:23], v[20:21]                  // 0000000085CC: D3B14014 18022916
	v_accvgpr_write_b32 a230, v20                              // 0000000085D4: D3D940E6 18000114
	v_accvgpr_write_b32 a231, v21                              // 0000000085DC: D3D940E7 18000115
	v_accvgpr_read_b32 v20, a232                               // 0000000085E4: D3D84014 180001E8
	v_accvgpr_read_b32 v21, a233                               // 0000000085EC: D3D84015 180001E9
	v_pk_mul_f32 v[20:21], v[22:23], v[20:21]                  // 0000000085F4: D3B14014 18022916
	v_accvgpr_write_b32 a232, v20                              // 0000000085FC: D3D940E8 18000114
	v_accvgpr_write_b32 a233, v21                              // 000000008604: D3D940E9 18000115
	v_accvgpr_read_b32 v20, a234                               // 00000000860C: D3D84014 180001EA
	v_accvgpr_read_b32 v21, a235                               // 000000008614: D3D84015 180001EB
	v_pk_mul_f32 v[20:21], v[22:23], v[20:21]                  // 00000000861C: D3B14014 18022916
	v_accvgpr_write_b32 a234, v20                              // 000000008624: D3D940EA 18000114
	v_accvgpr_write_b32 a235, v21                              // 00000000862C: D3D940EB 18000115
	s_waitcnt lgkmcnt(0)                                       // 000000008634: BF8CC07F
	v_mov_b32_e32 v25, 0xff800000                              // 000000008638: 7E3202FF FF800000
	s_and_b32 s56, s48, 0xff                                   // 000000008640: 8638FF30 000000FF
	v_mov_b32_e32 v24, s56                                     // 000000008648: 7E300238
	v_lshrrev_b32_e32 v20, 4, v0                               // 00000000864C: 20280084
	v_mul_i32_i24_e32 v20, 4, v20                              // 000000008650: 0C282884
	v_add_u32_e32 v21, 1, v20                                  // 000000008654: 682A2881
	v_add_u32_e32 v22, 2, v20                                  // 000000008658: 682C2882
	v_add_u32_e32 v23, 3, v20                                  // 00000000865C: 682E2883
	v_cmp_lt_u32_e64 s[38:39], v20, v24                        // 000000008660: D0C90026 00023114
	v_add_u32_e32 v20, 64, v20                                 // 000000008668: 682828C0
	s_nop 0                                                    // 00000000866C: BF800000
	v_cndmask_b32_e64 v36, v25, v36, s[38:39]                  // 000000008670: D1000024 009A4919
	v_cmp_lt_u32_e64 s[38:39], v21, v24                        // 000000008678: D0C90026 00023115
	v_add_u32_e32 v21, 64, v21                                 // 000000008680: 682A2AC0
	s_nop 0                                                    // 000000008684: BF800000
	v_cndmask_b32_e64 v37, v25, v37, s[38:39]                  // 000000008688: D1000025 009A4B19
	v_cmp_lt_u32_e64 s[38:39], v22, v24                        // 000000008690: D0C90026 00023116
	v_add_u32_e32 v22, 64, v22                                 // 000000008698: 682C2CC0
	s_nop 0                                                    // 00000000869C: BF800000
	v_cndmask_b32_e64 v38, v25, v38, s[38:39]                  // 0000000086A0: D1000026 009A4D19
	v_cmp_lt_u32_e64 s[38:39], v23, v24                        // 0000000086A8: D0C90026 00023117
	v_add_u32_e32 v23, 64, v23                                 // 0000000086B0: 682E2EC0
	s_nop 0                                                    // 0000000086B4: BF800000
	v_cndmask_b32_e64 v39, v25, v39, s[38:39]                  // 0000000086B8: D1000027 009A4F19
	v_mfma_f32_16x16x16_bf16 v[40:43], a[144:145], v[32:33], v[40:43]// 0000000086C0: D3E10028 0CA24190
	ds_read_b128 a[176:179], v7 offset:45312                   // 0000000086C8: DBFEB100 B0000007
	ds_read_b128 a[180:183], v7 offset:46336                   // 0000000086D0: DBFEB500 B4000007
	v_mfma_f32_16x16x16_bf16 v[44:47], a[146:147], v[32:33], v[44:47]// 0000000086D8: D3E1002C 0CB24192
	v_mfma_f32_16x16x16_bf16 v[48:51], a[148:149], v[32:33], v[48:51]// 0000000086E0: D3E10030 0CC24194
	v_mfma_f32_16x16x16_bf16 v[52:55], a[150:151], v[32:33], v[52:55]// 0000000086E8: D3E10034 0CD24196
	v_mfma_f32_16x16x16_bf16 v[56:59], a[152:153], v[32:33], v[56:59]// 0000000086F0: D3E10038 0CE24198
	ds_read_b128 a[184:187], v7 offset:47360                   // 0000000086F8: DBFEB900 B8000007
	ds_read_b128 a[188:191], v7 offset:48384                   // 000000008700: DBFEBD00 BC000007
	v_mfma_f32_16x16x16_bf16 v[60:63], a[154:155], v[32:33], v[60:63]// 000000008708: D3E1003C 0CF2419A
	v_mfma_f32_16x16x16_bf16 v[64:67], a[156:157], v[32:33], v[64:67]// 000000008710: D3E10040 0D02419C
	v_mfma_f32_16x16x16_bf16 v[68:71], a[158:159], v[32:33], v[68:71]// 000000008718: D3E10044 0D12419E
	v_mfma_f32_16x16x16_bf16 v[72:75], a[160:161], v[32:33], v[72:75]// 000000008720: D3E10048 0D2241A0
	ds_read_b128 a[192:195], v7 offset:49408                   // 000000008728: DBFEC100 C0000007
	ds_read_b128 a[196:199], v7 offset:50432                   // 000000008730: DBFEC500 C4000007
	v_mfma_f32_16x16x16_bf16 v[76:79], a[162:163], v[32:33], v[76:79]// 000000008738: D3E1004C 0D3241A2
	v_mfma_f32_16x16x16_bf16 v[80:83], a[164:165], v[32:33], v[80:83]// 000000008740: D3E10050 0D4241A4
	v_mfma_f32_16x16x16_bf16 v[84:87], a[166:167], v[32:33], v[84:87]// 000000008748: D3E10054 0D5241A6
	v_mfma_f32_16x16x16_bf16 v[88:91], a[168:169], v[32:33], v[88:91]// 000000008750: D3E10058 0D6241A8
	ds_read_b128 a[200:203], v7 offset:51456                   // 000000008758: DBFEC900 C8000007
	ds_read_b128 a[204:207], v7 offset:52480                   // 000000008760: DBFECD00 CC000007
	v_mfma_f32_16x16x16_bf16 v[92:95], a[170:171], v[32:33], v[92:95]// 000000008768: D3E1005C 0D7241AA
	v_mfma_f32_16x16x16_bf16 v[96:99], a[172:173], v[32:33], v[96:99]// 000000008770: D3E10060 0D8241AC
	v_mfma_f32_16x16x16_bf16 v[100:103], a[174:175], v[32:33], v[100:103]// 000000008778: D3E10064 0D9241AE
	s_waitcnt lgkmcnt(4)                                       // 000000008780: BF8CC47F
	v_mfma_f32_16x16x16_bf16 v[104:107], a[176:177], v[32:33], v[104:107]// 000000008784: D3E10068 0DA241B0
	v_max3_f32 v24, v36, v37, v36                              // 00000000878C: D1D30018 04924B24
	v_max3_f32 v24, v38, v39, v24                              // 000000008794: D1D30018 04624F26
	ds_write_b32 v3, v24 offset:54528                          // 00000000879C: D81AD500 00001803
	v_mfma_f32_16x16x16_bf16 v[108:111], a[178:179], v[32:33], v[108:111]// 0000000087A4: D3E1006C 0DB241B2
	v_mfma_f32_16x16x16_bf16 v[112:115], a[180:181], v[32:33], v[112:115]// 0000000087AC: D3E10070 0DC241B4
	v_mfma_f32_16x16x16_bf16 v[116:119], a[182:183], v[32:33], v[116:119]// 0000000087B4: D3E10074 0DD241B6
	v_mfma_f32_16x16x16_bf16 v[120:123], a[184:185], v[32:33], v[120:123]// 0000000087BC: D3E10078 0DE241B8
	v_mfma_f32_16x16x16_bf16 v[124:127], a[186:187], v[32:33], v[124:127]// 0000000087C4: D3E1007C 0DF241BA
	v_mfma_f32_16x16x16_bf16 v[128:131], a[188:189], v[32:33], v[128:131]// 0000000087CC: D3E10080 0E0241BC
	v_mfma_f32_16x16x16_bf16 v[132:135], a[190:191], v[32:33], v[132:135]// 0000000087D4: D3E10084 0E1241BE
	s_waitcnt lgkmcnt(0)                                       // 0000000087DC: BF8CC07F
	v_mfma_f32_16x16x16_bf16 v[136:139], a[192:193], v[32:33], v[136:139]// 0000000087E0: D3E10088 0E2241C0
	s_waitcnt lgkmcnt(0)                                       // 0000000087E8: BF8CC07F
	ds_read_b32 v20, v2 offset:54528                           // 0000000087EC: D86CD500 14000002
	ds_read_b32 v21, v2 offset:54592                           // 0000000087F4: D86CD540 15000002
	v_mfma_f32_16x16x16_bf16 v[140:143], a[194:195], v[32:33], v[140:143]// 0000000087FC: D3E1008C 0E3241C2
	ds_read_b32 v22, v2 offset:54656                           // 000000008804: D86CD580 16000002
	ds_read_b32 v23, v2 offset:54720                           // 00000000880C: D86CD5C0 17000002
	v_mfma_f32_16x16x16_bf16 v[144:147], a[196:197], v[32:33], v[144:147]// 000000008814: D3E10090 0E4241C4
	v_mfma_f32_16x16x16_bf16 a[216:219], a[198:199], v[32:33], a[216:219]// 00000000881C: D3E180D8 0F6241C6
	v_mfma_f32_16x16x16_bf16 a[220:223], a[200:201], v[32:33], a[220:223]// 000000008824: D3E180DC 0F7241C8
	v_mfma_f32_16x16x16_bf16 a[224:227], a[202:203], v[32:33], a[224:227]// 00000000882C: D3E180E0 0F8241CA
	v_mfma_f32_16x16x16_bf16 a[228:231], a[204:205], v[32:33], a[228:231]// 000000008834: D3E180E4 0F9241CC
	v_mfma_f32_16x16x16_bf16 a[232:235], a[206:207], v[32:33], a[232:235]// 00000000883C: D3E180E8 0FA241CE
	s_waitcnt lgkmcnt(0)                                       // 000000008844: BF8CC07F
	v_max3_f32 v24, v20, v21, v24                              // 000000008848: D1D30018 04622B14
	v_max3_f32 v24, v22, v23, v24                              // 000000008850: D1D30018 04622F16
	v_mov_b32_e32 v25, 0xff7fffff                              // 000000008858: 7E3202FF FF7FFFFF
	v_cmp_eq_u32_e64 s[38:39], v25, v13                        // 000000008860: D0CA0026 00021B19
	v_max_f32_e32 v20, v24, v13                                // 000000008868: 16281B18
	v_sub_f32_e32 v17, v13, v20                                // 00000000886C: 0422290D
	v_cndmask_b32_e64 v17, v17, 0, s[38:39]                    // 000000008870: D1000011 00990111
	v_mov_b32_e32 v13, v20                                     // 000000008878: 7E1A0314
	v_mul_f32_e32 v21, s5, v20                                 // 00000000887C: 0A2A2805
	v_mul_f32_e32 v17, s5, v17                                 // 000000008880: 0A222205
	v_exp_f32_e32 v17, v17                                     // 000000008884: 7E224111
	v_fma_f32 v36, v36, s5, -v21                               // 000000008888: D1CB0024 84540B24
	v_fma_f32 v37, v37, s5, -v21                               // 000000008890: D1CB0025 84540B25
	v_fma_f32 v38, v38, s5, -v21                               // 000000008898: D1CB0026 84540B26
	v_fma_f32 v39, v39, s5, -v21                               // 0000000088A0: D1CB0027 84540B27
	v_exp_f32_e32 v36, v36                                     // 0000000088A8: 7E484124
	v_exp_f32_e32 v37, v37                                     // 0000000088AC: 7E4A4125
	v_exp_f32_e32 v38, v38                                     // 0000000088B0: 7E4C4126
	v_exp_f32_e32 v39, v39                                     // 0000000088B4: 7E4E4127
	v_mul_f32_e32 v15, v17, v15                                // 0000000088B8: 0A1E1F11
	v_mov_b32_e32 v22, v36                                     // 0000000088BC: 7E2C0324
	v_add_f32_e32 v22, v37, v22                                // 0000000088C0: 022C2D25
	v_add_f32_e32 v22, v38, v22                                // 0000000088C4: 022C2D26
	v_add_f32_e32 v22, v39, v22                                // 0000000088C8: 022C2D27
	v_add_f32_e32 v15, v22, v15                                // 0000000088CC: 021E1F16
	v_mov_b32_e32 v29, 0xffff0000                              // 0000000088D0: 7E3A02FF FFFF0000
	v_mov_b32_e32 v30, 0x7fff0000                              // 0000000088D8: 7E3C02FF 7FFF0000
	v_mov_b32_e32 v31, 0x7fff                                  // 0000000088E0: 7E3E02FF 00007FFF
	v_cmp_u_f32_e64 s[38:39], v36, v36                         // 0000000088E8: D0480026 00024924
	v_add3_u32 v28, v36, v31, 1                                // 0000000088F0: D1FF001C 02063F24
	v_cndmask_b32_e64 v20, v28, v30, s[38:39]                  // 0000000088F8: D1000014 009A3D1C
	v_cmp_u_f32_e64 s[38:39], v37, v37                         // 000000008900: D0480026 00024B25
	v_add3_u32 v28, v37, v31, 1                                // 000000008908: D1FF001C 02063F25
	v_cndmask_b32_e64 v21, v28, v30, s[38:39]                  // 000000008910: D1000015 009A3D1C
	v_perm_b32 v36, v21, v20, s52                              // 000000008918: D1ED0024 00D22915
	v_cmp_u_f32_e64 s[38:39], v38, v38                         // 000000008920: D0480026 00024D26
	v_add3_u32 v28, v38, v31, 1                                // 000000008928: D1FF001C 02063F26
	v_cndmask_b32_e64 v20, v28, v30, s[38:39]                  // 000000008930: D1000014 009A3D1C
	v_cmp_u_f32_e64 s[38:39], v39, v39                         // 000000008938: D0480026 00024F27
	v_add3_u32 v28, v39, v31, 1                                // 000000008940: D1FF001C 02063F27
	v_cndmask_b32_e64 v21, v28, v30, s[38:39]                  // 000000008948: D1000015 009A3D1C
	v_perm_b32 v37, v21, v20, s52                              // 000000008950: D1ED0025 00D22915
	s_nop 2                                                    // 000000008958: BF800002
	v_mov_b32_e32 v22, v17                                     // 00000000895C: 7E2C0311
	v_mov_b32_e32 v23, v17                                     // 000000008960: 7E2E0311
	v_pk_mul_f32 v[148:149], v[22:23], v[148:149]              // 000000008964: D3B14094 18032916
	v_pk_mul_f32 v[150:151], v[22:23], v[150:151]              // 00000000896C: D3B14096 18032D16
	v_pk_mul_f32 v[152:153], v[22:23], v[152:153]              // 000000008974: D3B14098 18033116
	v_pk_mul_f32 v[154:155], v[22:23], v[154:155]              // 00000000897C: D3B1409A 18033516
	v_pk_mul_f32 v[156:157], v[22:23], v[156:157]              // 000000008984: D3B1409C 18033916
	v_pk_mul_f32 v[158:159], v[22:23], v[158:159]              // 00000000898C: D3B1409E 18033D16
	v_pk_mul_f32 v[160:161], v[22:23], v[160:161]              // 000000008994: D3B140A0 18034116
	v_pk_mul_f32 v[162:163], v[22:23], v[162:163]              // 00000000899C: D3B140A2 18034516
	v_pk_mul_f32 v[164:165], v[22:23], v[164:165]              // 0000000089A4: D3B140A4 18034916
	v_pk_mul_f32 v[166:167], v[22:23], v[166:167]              // 0000000089AC: D3B140A6 18034D16
	v_pk_mul_f32 v[168:169], v[22:23], v[168:169]              // 0000000089B4: D3B140A8 18035116
	v_pk_mul_f32 v[170:171], v[22:23], v[170:171]              // 0000000089BC: D3B140AA 18035516
	v_pk_mul_f32 v[172:173], v[22:23], v[172:173]              // 0000000089C4: D3B140AC 18035916
	v_pk_mul_f32 v[174:175], v[22:23], v[174:175]              // 0000000089CC: D3B140AE 18035D16
	v_pk_mul_f32 v[176:177], v[22:23], v[176:177]              // 0000000089D4: D3B140B0 18036116
	v_pk_mul_f32 v[178:179], v[22:23], v[178:179]              // 0000000089DC: D3B140B2 18036516
	v_pk_mul_f32 v[180:181], v[22:23], v[180:181]              // 0000000089E4: D3B140B4 18036916
	v_pk_mul_f32 v[182:183], v[22:23], v[182:183]              // 0000000089EC: D3B140B6 18036D16
	v_pk_mul_f32 v[184:185], v[22:23], v[184:185]              // 0000000089F4: D3B140B8 18037116
	v_pk_mul_f32 v[186:187], v[22:23], v[186:187]              // 0000000089FC: D3B140BA 18037516
	v_pk_mul_f32 v[188:189], v[22:23], v[188:189]              // 000000008A04: D3B140BC 18037916
	v_pk_mul_f32 v[190:191], v[22:23], v[190:191]              // 000000008A0C: D3B140BE 18037D16
	v_pk_mul_f32 v[192:193], v[22:23], v[192:193]              // 000000008A14: D3B140C0 18038116
	v_pk_mul_f32 v[194:195], v[22:23], v[194:195]              // 000000008A1C: D3B140C2 18038516
	v_pk_mul_f32 v[196:197], v[22:23], v[196:197]              // 000000008A24: D3B140C4 18038916
	v_pk_mul_f32 v[198:199], v[22:23], v[198:199]              // 000000008A2C: D3B140C6 18038D16
	v_pk_mul_f32 v[200:201], v[22:23], v[200:201]              // 000000008A34: D3B140C8 18039116
	v_pk_mul_f32 v[202:203], v[22:23], v[202:203]              // 000000008A3C: D3B140CA 18039516
	v_pk_mul_f32 v[204:205], v[22:23], v[204:205]              // 000000008A44: D3B140CC 18039916
	v_pk_mul_f32 v[206:207], v[22:23], v[206:207]              // 000000008A4C: D3B140CE 18039D16
	v_pk_mul_f32 v[208:209], v[22:23], v[208:209]              // 000000008A54: D3B140D0 1803A116
	v_pk_mul_f32 v[210:211], v[22:23], v[210:211]              // 000000008A5C: D3B140D2 1803A516
	v_pk_mul_f32 v[212:213], v[22:23], v[212:213]              // 000000008A64: D3B140D4 1803A916
	v_pk_mul_f32 v[214:215], v[22:23], v[214:215]              // 000000008A6C: D3B140D6 1803AD16
	v_pk_mul_f32 v[216:217], v[22:23], v[216:217]              // 000000008A74: D3B140D8 1803B116
	v_pk_mul_f32 v[218:219], v[22:23], v[218:219]              // 000000008A7C: D3B140DA 1803B516
	v_pk_mul_f32 v[220:221], v[22:23], v[220:221]              // 000000008A84: D3B140DC 1803B916
	v_pk_mul_f32 v[222:223], v[22:23], v[222:223]              // 000000008A8C: D3B140DE 1803BD16
	v_pk_mul_f32 v[224:225], v[22:23], v[224:225]              // 000000008A94: D3B140E0 1803C116
	v_pk_mul_f32 v[226:227], v[22:23], v[226:227]              // 000000008A9C: D3B140E2 1803C516
	v_pk_mul_f32 v[228:229], v[22:23], v[228:229]              // 000000008AA4: D3B140E4 1803C916
	v_pk_mul_f32 v[230:231], v[22:23], v[230:231]              // 000000008AAC: D3B140E6 1803CD16
	v_pk_mul_f32 v[232:233], v[22:23], v[232:233]              // 000000008AB4: D3B140E8 1803D116
	v_pk_mul_f32 v[234:235], v[22:23], v[234:235]              // 000000008ABC: D3B140EA 1803D516
	v_pk_mul_f32 v[236:237], v[22:23], v[236:237]              // 000000008AC4: D3B140EC 1803D916
	v_pk_mul_f32 v[238:239], v[22:23], v[238:239]              // 000000008ACC: D3B140EE 1803DD16
	v_pk_mul_f32 v[240:241], v[22:23], v[240:241]              // 000000008AD4: D3B140F0 1803E116
	v_pk_mul_f32 v[242:243], v[22:23], v[242:243]              // 000000008ADC: D3B140F2 1803E516
	v_pk_mul_f32 v[244:245], v[22:23], v[244:245]              // 000000008AE4: D3B140F4 1803E916
	v_pk_mul_f32 v[246:247], v[22:23], v[246:247]              // 000000008AEC: D3B140F6 1803ED16
	v_pk_mul_f32 v[248:249], v[22:23], v[248:249]              // 000000008AF4: D3B140F8 1803F116
	v_pk_mul_f32 v[250:251], v[22:23], v[250:251]              // 000000008AFC: D3B140FA 1803F516
	v_pk_mul_f32 v[252:253], v[22:23], v[252:253]              // 000000008B04: D3B140FC 1803F916
	v_pk_mul_f32 v[254:255], v[22:23], v[254:255]              // 000000008B0C: D3B140FE 1803FD16
	v_accvgpr_read_b32 v20, a236                               // 000000008B14: D3D84014 180001EC
	v_accvgpr_read_b32 v21, a237                               // 000000008B1C: D3D84015 180001ED
	v_pk_mul_f32 v[20:21], v[22:23], v[20:21]                  // 000000008B24: D3B14014 18022916
	v_accvgpr_write_b32 a236, v20                              // 000000008B2C: D3D940EC 18000114
	v_accvgpr_write_b32 a237, v21                              // 000000008B34: D3D940ED 18000115
	v_accvgpr_read_b32 v20, a238                               // 000000008B3C: D3D84014 180001EE
	v_accvgpr_read_b32 v21, a239                               // 000000008B44: D3D84015 180001EF
	v_pk_mul_f32 v[20:21], v[22:23], v[20:21]                  // 000000008B4C: D3B14014 18022916
	v_accvgpr_write_b32 a238, v20                              // 000000008B54: D3D940EE 18000114
	v_accvgpr_write_b32 a239, v21                              // 000000008B5C: D3D940EF 18000115
	v_accvgpr_read_b32 v20, a240                               // 000000008B64: D3D84014 180001F0
	v_accvgpr_read_b32 v21, a241                               // 000000008B6C: D3D84015 180001F1
	v_pk_mul_f32 v[20:21], v[22:23], v[20:21]                  // 000000008B74: D3B14014 18022916
	v_accvgpr_write_b32 a240, v20                              // 000000008B7C: D3D940F0 18000114
	v_accvgpr_write_b32 a241, v21                              // 000000008B84: D3D940F1 18000115
	v_accvgpr_read_b32 v20, a242                               // 000000008B8C: D3D84014 180001F2
	v_accvgpr_read_b32 v21, a243                               // 000000008B94: D3D84015 180001F3
	v_pk_mul_f32 v[20:21], v[22:23], v[20:21]                  // 000000008B9C: D3B14014 18022916
	v_accvgpr_write_b32 a242, v20                              // 000000008BA4: D3D940F2 18000114
	v_accvgpr_write_b32 a243, v21                              // 000000008BAC: D3D940F3 18000115
	v_accvgpr_read_b32 v20, a244                               // 000000008BB4: D3D84014 180001F4
	v_accvgpr_read_b32 v21, a245                               // 000000008BBC: D3D84015 180001F5
	v_pk_mul_f32 v[20:21], v[22:23], v[20:21]                  // 000000008BC4: D3B14014 18022916
	v_accvgpr_write_b32 a244, v20                              // 000000008BCC: D3D940F4 18000114
	v_accvgpr_write_b32 a245, v21                              // 000000008BD4: D3D940F5 18000115
	v_accvgpr_read_b32 v20, a246                               // 000000008BDC: D3D84014 180001F6
	v_accvgpr_read_b32 v21, a247                               // 000000008BE4: D3D84015 180001F7
	v_pk_mul_f32 v[20:21], v[22:23], v[20:21]                  // 000000008BEC: D3B14014 18022916
	v_accvgpr_write_b32 a246, v20                              // 000000008BF4: D3D940F6 18000114
	v_accvgpr_write_b32 a247, v21                              // 000000008BFC: D3D940F7 18000115
	v_accvgpr_read_b32 v20, a248                               // 000000008C04: D3D84014 180001F8
	v_accvgpr_read_b32 v21, a249                               // 000000008C0C: D3D84015 180001F9
	v_pk_mul_f32 v[20:21], v[22:23], v[20:21]                  // 000000008C14: D3B14014 18022916
	v_accvgpr_write_b32 a248, v20                              // 000000008C1C: D3D940F8 18000114
	v_accvgpr_write_b32 a249, v21                              // 000000008C24: D3D940F9 18000115
	v_accvgpr_read_b32 v20, a250                               // 000000008C2C: D3D84014 180001FA
	v_accvgpr_read_b32 v21, a251                               // 000000008C34: D3D84015 180001FB
	v_pk_mul_f32 v[20:21], v[22:23], v[20:21]                  // 000000008C3C: D3B14014 18022916
	v_accvgpr_write_b32 a250, v20                              // 000000008C44: D3D940FA 18000114
	v_accvgpr_write_b32 a251, v21                              // 000000008C4C: D3D940FB 18000115
	v_accvgpr_read_b32 v20, a252                               // 000000008C54: D3D84014 180001FC
	v_accvgpr_read_b32 v21, a253                               // 000000008C5C: D3D84015 180001FD
	v_pk_mul_f32 v[20:21], v[22:23], v[20:21]                  // 000000008C64: D3B14014 18022916
	v_accvgpr_write_b32 a252, v20                              // 000000008C6C: D3D940FC 18000114
	v_accvgpr_write_b32 a253, v21                              // 000000008C74: D3D940FD 18000115
	v_accvgpr_read_b32 v20, a254                               // 000000008C7C: D3D84014 180001FE
	v_accvgpr_read_b32 v21, a255                               // 000000008C84: D3D84015 180001FF
	v_pk_mul_f32 v[20:21], v[22:23], v[20:21]                  // 000000008C8C: D3B14014 18022916
	v_accvgpr_write_b32 a254, v20                              // 000000008C94: D3D940FE 18000114
	v_accvgpr_write_b32 a255, v21                              // 000000008C9C: D3D940FF 18000115
	s_waitcnt vmcnt(18) lgkmcnt(0)                             // 000000008CA4: BF8C4072
	s_barrier                                                  // 000000008CA8: BF8A0000
	v_mfma_f32_16x16x16_bf16 v[148:151], a[144:145], v[36:37], v[148:151]// 000000008CAC: D3E10094 0E524990
	v_mfma_f32_16x16x16_bf16 v[152:155], a[146:147], v[36:37], v[152:155]// 000000008CB4: D3E10098 0E624992
	v_mfma_f32_16x16x16_bf16 v[156:159], a[148:149], v[36:37], v[156:159]// 000000008CBC: D3E1009C 0E724994
	v_mfma_f32_16x16x16_bf16 v[160:163], a[150:151], v[36:37], v[160:163]// 000000008CC4: D3E100A0 0E824996
	v_mfma_f32_16x16x16_bf16 v[164:167], a[152:153], v[36:37], v[164:167]// 000000008CCC: D3E100A4 0E924998
	v_mfma_f32_16x16x16_bf16 v[168:171], a[154:155], v[36:37], v[168:171]// 000000008CD4: D3E100A8 0EA2499A
	v_mfma_f32_16x16x16_bf16 v[172:175], a[156:157], v[36:37], v[172:175]// 000000008CDC: D3E100AC 0EB2499C
	v_mfma_f32_16x16x16_bf16 v[176:179], a[158:159], v[36:37], v[176:179]// 000000008CE4: D3E100B0 0EC2499E
	v_mfma_f32_16x16x16_bf16 v[180:183], a[160:161], v[36:37], v[180:183]// 000000008CEC: D3E100B4 0ED249A0
	v_mfma_f32_16x16x16_bf16 v[184:187], a[162:163], v[36:37], v[184:187]// 000000008CF4: D3E100B8 0EE249A2
	v_mfma_f32_16x16x16_bf16 v[188:191], a[164:165], v[36:37], v[188:191]// 000000008CFC: D3E100BC 0EF249A4
	v_mfma_f32_16x16x16_bf16 v[192:195], a[166:167], v[36:37], v[192:195]// 000000008D04: D3E100C0 0F0249A6
	v_mfma_f32_16x16x16_bf16 v[196:199], a[168:169], v[36:37], v[196:199]// 000000008D0C: D3E100C4 0F1249A8
	v_mfma_f32_16x16x16_bf16 v[200:203], a[170:171], v[36:37], v[200:203]// 000000008D14: D3E100C8 0F2249AA
	v_mfma_f32_16x16x16_bf16 v[204:207], a[172:173], v[36:37], v[204:207]// 000000008D1C: D3E100CC 0F3249AC
	v_mfma_f32_16x16x16_bf16 v[208:211], a[174:175], v[36:37], v[208:211]// 000000008D24: D3E100D0 0F4249AE
	v_mfma_f32_16x16x16_bf16 v[212:215], a[176:177], v[36:37], v[212:215]// 000000008D2C: D3E100D4 0F5249B0
	v_mfma_f32_16x16x16_bf16 v[216:219], a[178:179], v[36:37], v[216:219]// 000000008D34: D3E100D8 0F6249B2
	v_mfma_f32_16x16x16_bf16 v[220:223], a[180:181], v[36:37], v[220:223]// 000000008D3C: D3E100DC 0F7249B4
	v_mfma_f32_16x16x16_bf16 v[224:227], a[182:183], v[36:37], v[224:227]// 000000008D44: D3E100E0 0F8249B6
	v_mfma_f32_16x16x16_bf16 v[228:231], a[184:185], v[36:37], v[228:231]// 000000008D4C: D3E100E4 0F9249B8
	v_mfma_f32_16x16x16_bf16 v[232:235], a[186:187], v[36:37], v[232:235]// 000000008D54: D3E100E8 0FA249BA
	v_mfma_f32_16x16x16_bf16 v[236:239], a[188:189], v[36:37], v[236:239]// 000000008D5C: D3E100EC 0FB249BC
	v_mfma_f32_16x16x16_bf16 v[240:243], a[190:191], v[36:37], v[240:243]// 000000008D64: D3E100F0 0FC249BE
	v_mfma_f32_16x16x16_bf16 v[244:247], a[192:193], v[36:37], v[244:247]// 000000008D6C: D3E100F4 0FD249C0
	v_mfma_f32_16x16x16_bf16 v[248:251], a[194:195], v[36:37], v[248:251]// 000000008D74: D3E100F8 0FE249C2
	v_mfma_f32_16x16x16_bf16 v[252:255], a[196:197], v[36:37], v[252:255]// 000000008D7C: D3E100FC 0FF249C4
	v_mfma_f32_16x16x16_bf16 a[236:239], a[198:199], v[36:37], a[236:239]// 000000008D84: D3E180EC 0FB249C6
	v_mfma_f32_16x16x16_bf16 a[240:243], a[200:201], v[36:37], a[240:243]// 000000008D8C: D3E180F0 0FC249C8
	v_mfma_f32_16x16x16_bf16 a[244:247], a[202:203], v[36:37], a[244:247]// 000000008D94: D3E180F4 0FD249CA
	v_mfma_f32_16x16x16_bf16 a[248:251], a[204:205], v[36:37], a[248:251]// 000000008D9C: D3E180F8 0FE249CC
	v_mfma_f32_16x16x16_bf16 a[252:255], a[206:207], v[36:37], a[252:255]// 000000008DA4: D3E180FC 0FF249CE
	s_nop 8                                                    // 000000008DAC: BF800008
	s_branch label_1F6D                                        // 000000008DB0: BF820000

0000000000008db4 <label_1F6D>:
	ds_write_b32 v3, v14 offset:55552                          // 000000008DB4: D81AD900 00000E03
	ds_write_b32 v3, v15 offset:56576                          // 000000008DBC: D81ADD00 00000F03
	s_waitcnt lgkmcnt(0)                                       // 000000008DC4: BF8CC07F
	ds_read_b32 v20, v2 offset:55552                           // 000000008DC8: D86CD900 14000002
	ds_read_b32 v21, v2 offset:55616                           // 000000008DD0: D86CD940 15000002
	ds_read_b32 v22, v2 offset:55680                           // 000000008DD8: D86CD980 16000002
	ds_read_b32 v23, v2 offset:55744                           // 000000008DE0: D86CD9C0 17000002
	ds_read_b32 v24, v2 offset:56576                           // 000000008DE8: D86CDD00 18000002
	ds_read_b32 v25, v2 offset:56640                           // 000000008DF0: D86CDD40 19000002
	ds_read_b32 v26, v2 offset:56704                           // 000000008DF8: D86CDD80 1A000002
	ds_read_b32 v27, v2 offset:56768                           // 000000008E00: D86CDDC0 1B000002
	s_waitcnt lgkmcnt(0)                                       // 000000008E08: BF8CC07F
	v_mov_b32_e32 v14, 0                                       // 000000008E0C: 7E1C0280
	v_mov_b32_e32 v15, 0                                       // 000000008E10: 7E1E0280
	v_add_f32_e32 v14, v20, v14                                // 000000008E14: 021C1D14
	v_add_f32_e32 v15, v24, v15                                // 000000008E18: 021E1F18
	v_add_f32_e32 v14, v21, v14                                // 000000008E1C: 021C1D15
	v_add_f32_e32 v15, v25, v15                                // 000000008E20: 021E1F19
	v_add_f32_e32 v14, v22, v14                                // 000000008E24: 021C1D16
	v_add_f32_e32 v15, v26, v15                                // 000000008E28: 021E1F1A
	v_add_f32_e32 v14, v23, v14                                // 000000008E2C: 021C1D17
	v_add_f32_e32 v15, v27, v15                                // 000000008E30: 021E1F1B
	v_mov_b32_e32 v20, 0                                       // 000000008E34: 7E280280
	v_cmp_eq_u32_e64 s[38:39], v20, v14                        // 000000008E38: D0CA0026 00021D14
	v_cmp_eq_u32_e64 s[40:41], v20, v15                        // 000000008E40: D0CA0028 00021F14
	v_mul_f32_e64 v20, v12, s64                                // 000000008E48: D1050014 0000810C
	v_mul_f32_e64 v22, v13, s64                                // 000000008E50: D1050016 0000810D
	v_log_f32_e32 v21, v14                                     // 000000008E58: 7E2A430E
	v_log_f32_e32 v23, v15                                     // 000000008E5C: 7E2E430F
	v_cndmask_b32_e64 v14, v14, 1.0, s[38:39]                  // 000000008E60: D100000E 0099E50E
	v_cndmask_b32_e64 v15, v15, 1.0, s[40:41]                  // 000000008E68: D100000F 00A1E50F
	s_nop 1                                                    // 000000008E70: BF800001
	v_rcp_f32_e32 v14, v14                                     // 000000008E74: 7E1C450E
	v_rcp_f32_e32 v15, v15                                     // 000000008E78: 7E1E450F
	s_nop 1                                                    // 000000008E7C: BF800001
	v_fma_f32 v24, v21, s63, v20                               // 000000008E80: D1CB0018 04507F15
	v_fma_f32 v25, v23, s63, v22                               // 000000008E88: D1CB0019 04587F17
	v_mul_f32_e32 v40, v14, v40                                // 000000008E90: 0A50510E
	v_mul_f32_e32 v41, v14, v41                                // 000000008E94: 0A52530E
	v_mul_f32_e32 v42, v14, v42                                // 000000008E98: 0A54550E
	v_mul_f32_e32 v43, v14, v43                                // 000000008E9C: 0A56570E
	v_mul_f32_e32 v44, v14, v44                                // 000000008EA0: 0A58590E
	v_mul_f32_e32 v45, v14, v45                                // 000000008EA4: 0A5A5B0E
	v_mul_f32_e32 v46, v14, v46                                // 000000008EA8: 0A5C5D0E
	v_mul_f32_e32 v47, v14, v47                                // 000000008EAC: 0A5E5F0E
	v_mul_f32_e32 v48, v14, v48                                // 000000008EB0: 0A60610E
	v_mul_f32_e32 v49, v14, v49                                // 000000008EB4: 0A62630E
	v_mul_f32_e32 v50, v14, v50                                // 000000008EB8: 0A64650E
	v_mul_f32_e32 v51, v14, v51                                // 000000008EBC: 0A66670E
	v_mul_f32_e32 v52, v14, v52                                // 000000008EC0: 0A68690E
	v_mul_f32_e32 v53, v14, v53                                // 000000008EC4: 0A6A6B0E
	v_mul_f32_e32 v54, v14, v54                                // 000000008EC8: 0A6C6D0E
	v_mul_f32_e32 v55, v14, v55                                // 000000008ECC: 0A6E6F0E
	v_mul_f32_e32 v56, v14, v56                                // 000000008ED0: 0A70710E
	v_mul_f32_e32 v57, v14, v57                                // 000000008ED4: 0A72730E
	v_mul_f32_e32 v58, v14, v58                                // 000000008ED8: 0A74750E
	v_mul_f32_e32 v59, v14, v59                                // 000000008EDC: 0A76770E
	v_mul_f32_e32 v60, v14, v60                                // 000000008EE0: 0A78790E
	v_mul_f32_e32 v61, v14, v61                                // 000000008EE4: 0A7A7B0E
	v_mul_f32_e32 v62, v14, v62                                // 000000008EE8: 0A7C7D0E
	v_mul_f32_e32 v63, v14, v63                                // 000000008EEC: 0A7E7F0E
	v_mul_f32_e32 v64, v14, v64                                // 000000008EF0: 0A80810E
	v_mul_f32_e32 v65, v14, v65                                // 000000008EF4: 0A82830E
	v_mul_f32_e32 v66, v14, v66                                // 000000008EF8: 0A84850E
	v_mul_f32_e32 v67, v14, v67                                // 000000008EFC: 0A86870E
	v_mul_f32_e32 v68, v14, v68                                // 000000008F00: 0A88890E
	v_mul_f32_e32 v69, v14, v69                                // 000000008F04: 0A8A8B0E
	v_mul_f32_e32 v70, v14, v70                                // 000000008F08: 0A8C8D0E
	v_mul_f32_e32 v71, v14, v71                                // 000000008F0C: 0A8E8F0E
	v_mul_f32_e32 v72, v14, v72                                // 000000008F10: 0A90910E
	v_mul_f32_e32 v73, v14, v73                                // 000000008F14: 0A92930E
	v_mul_f32_e32 v74, v14, v74                                // 000000008F18: 0A94950E
	v_mul_f32_e32 v75, v14, v75                                // 000000008F1C: 0A96970E
	v_mul_f32_e32 v76, v14, v76                                // 000000008F20: 0A98990E
	v_mul_f32_e32 v77, v14, v77                                // 000000008F24: 0A9A9B0E
	v_mul_f32_e32 v78, v14, v78                                // 000000008F28: 0A9C9D0E
	v_mul_f32_e32 v79, v14, v79                                // 000000008F2C: 0A9E9F0E
	v_mul_f32_e32 v80, v14, v80                                // 000000008F30: 0AA0A10E
	v_mul_f32_e32 v81, v14, v81                                // 000000008F34: 0AA2A30E
	v_mul_f32_e32 v82, v14, v82                                // 000000008F38: 0AA4A50E
	v_mul_f32_e32 v83, v14, v83                                // 000000008F3C: 0AA6A70E
	v_mul_f32_e32 v84, v14, v84                                // 000000008F40: 0AA8A90E
	v_mul_f32_e32 v85, v14, v85                                // 000000008F44: 0AAAAB0E
	v_mul_f32_e32 v86, v14, v86                                // 000000008F48: 0AACAD0E
	v_mul_f32_e32 v87, v14, v87                                // 000000008F4C: 0AAEAF0E
	v_mul_f32_e32 v88, v14, v88                                // 000000008F50: 0AB0B10E
	v_mul_f32_e32 v89, v14, v89                                // 000000008F54: 0AB2B30E
	v_mul_f32_e32 v90, v14, v90                                // 000000008F58: 0AB4B50E
	v_mul_f32_e32 v91, v14, v91                                // 000000008F5C: 0AB6B70E
	v_mul_f32_e32 v92, v14, v92                                // 000000008F60: 0AB8B90E
	v_mul_f32_e32 v93, v14, v93                                // 000000008F64: 0ABABB0E
	v_mul_f32_e32 v94, v14, v94                                // 000000008F68: 0ABCBD0E
	v_mul_f32_e32 v95, v14, v95                                // 000000008F6C: 0ABEBF0E
	v_mul_f32_e32 v96, v14, v96                                // 000000008F70: 0AC0C10E
	v_mul_f32_e32 v97, v14, v97                                // 000000008F74: 0AC2C30E
	v_mul_f32_e32 v98, v14, v98                                // 000000008F78: 0AC4C50E
	v_mul_f32_e32 v99, v14, v99                                // 000000008F7C: 0AC6C70E
	v_mul_f32_e32 v100, v14, v100                              // 000000008F80: 0AC8C90E
	v_mul_f32_e32 v101, v14, v101                              // 000000008F84: 0ACACB0E
	v_mul_f32_e32 v102, v14, v102                              // 000000008F88: 0ACCCD0E
	v_mul_f32_e32 v103, v14, v103                              // 000000008F8C: 0ACECF0E
	v_mul_f32_e32 v104, v14, v104                              // 000000008F90: 0AD0D10E
	v_mul_f32_e32 v105, v14, v105                              // 000000008F94: 0AD2D30E
	v_mul_f32_e32 v106, v14, v106                              // 000000008F98: 0AD4D50E
	v_mul_f32_e32 v107, v14, v107                              // 000000008F9C: 0AD6D70E
	v_mul_f32_e32 v108, v14, v108                              // 000000008FA0: 0AD8D90E
	v_mul_f32_e32 v109, v14, v109                              // 000000008FA4: 0ADADB0E
	v_mul_f32_e32 v110, v14, v110                              // 000000008FA8: 0ADCDD0E
	v_mul_f32_e32 v111, v14, v111                              // 000000008FAC: 0ADEDF0E
	v_mul_f32_e32 v112, v14, v112                              // 000000008FB0: 0AE0E10E
	v_mul_f32_e32 v113, v14, v113                              // 000000008FB4: 0AE2E30E
	v_mul_f32_e32 v114, v14, v114                              // 000000008FB8: 0AE4E50E
	v_mul_f32_e32 v115, v14, v115                              // 000000008FBC: 0AE6E70E
	v_mul_f32_e32 v116, v14, v116                              // 000000008FC0: 0AE8E90E
	v_mul_f32_e32 v117, v14, v117                              // 000000008FC4: 0AEAEB0E
	v_mul_f32_e32 v118, v14, v118                              // 000000008FC8: 0AECED0E
	v_mul_f32_e32 v119, v14, v119                              // 000000008FCC: 0AEEEF0E
	v_mul_f32_e32 v120, v14, v120                              // 000000008FD0: 0AF0F10E
	v_mul_f32_e32 v121, v14, v121                              // 000000008FD4: 0AF2F30E
	v_mul_f32_e32 v122, v14, v122                              // 000000008FD8: 0AF4F50E
	v_mul_f32_e32 v123, v14, v123                              // 000000008FDC: 0AF6F70E
	v_mul_f32_e32 v124, v14, v124                              // 000000008FE0: 0AF8F90E
	v_mul_f32_e32 v125, v14, v125                              // 000000008FE4: 0AFAFB0E
	v_mul_f32_e32 v126, v14, v126                              // 000000008FE8: 0AFCFD0E
	v_mul_f32_e32 v127, v14, v127                              // 000000008FEC: 0AFEFF0E
	v_mul_f32_e32 v128, v14, v128                              // 000000008FF0: 0B01010E
	v_mul_f32_e32 v129, v14, v129                              // 000000008FF4: 0B03030E
	v_mul_f32_e32 v130, v14, v130                              // 000000008FF8: 0B05050E
	v_mul_f32_e32 v131, v14, v131                              // 000000008FFC: 0B07070E
	v_mul_f32_e32 v132, v14, v132                              // 000000009000: 0B09090E
	v_mul_f32_e32 v133, v14, v133                              // 000000009004: 0B0B0B0E
	v_mul_f32_e32 v134, v14, v134                              // 000000009008: 0B0D0D0E
	v_mul_f32_e32 v135, v14, v135                              // 00000000900C: 0B0F0F0E
	v_mul_f32_e32 v136, v14, v136                              // 000000009010: 0B11110E
	v_mul_f32_e32 v137, v14, v137                              // 000000009014: 0B13130E
	v_mul_f32_e32 v138, v14, v138                              // 000000009018: 0B15150E
	v_mul_f32_e32 v139, v14, v139                              // 00000000901C: 0B17170E
	v_mul_f32_e32 v140, v14, v140                              // 000000009020: 0B19190E
	v_mul_f32_e32 v141, v14, v141                              // 000000009024: 0B1B1B0E
	v_mul_f32_e32 v142, v14, v142                              // 000000009028: 0B1D1D0E
	v_mul_f32_e32 v143, v14, v143                              // 00000000902C: 0B1F1F0E
	v_mul_f32_e32 v144, v14, v144                              // 000000009030: 0B21210E
	v_mul_f32_e32 v145, v14, v145                              // 000000009034: 0B23230E
	v_mul_f32_e32 v146, v14, v146                              // 000000009038: 0B25250E
	v_mul_f32_e32 v147, v14, v147                              // 00000000903C: 0B27270E
	v_accvgpr_read_b32 v20, a216                               // 000000009040: D3D84014 180001D8
	v_accvgpr_read_b32 v21, a217                               // 000000009048: D3D84015 180001D9
	v_mul_f32_e32 v20, v14, v20                                // 000000009050: 0A28290E
	v_mul_f32_e32 v21, v14, v21                                // 000000009054: 0A2A2B0E
	v_accvgpr_write_b32 a216, v20                              // 000000009058: D3D940D8 18000114
	v_accvgpr_write_b32 a217, v21                              // 000000009060: D3D940D9 18000115
	v_accvgpr_read_b32 v20, a218                               // 000000009068: D3D84014 180001DA
	v_accvgpr_read_b32 v21, a219                               // 000000009070: D3D84015 180001DB
	v_mul_f32_e32 v20, v14, v20                                // 000000009078: 0A28290E
	v_mul_f32_e32 v21, v14, v21                                // 00000000907C: 0A2A2B0E
	v_accvgpr_write_b32 a218, v20                              // 000000009080: D3D940DA 18000114
	v_accvgpr_write_b32 a219, v21                              // 000000009088: D3D940DB 18000115
	v_accvgpr_read_b32 v20, a220                               // 000000009090: D3D84014 180001DC
	v_accvgpr_read_b32 v21, a221                               // 000000009098: D3D84015 180001DD
	v_mul_f32_e32 v20, v14, v20                                // 0000000090A0: 0A28290E
	v_mul_f32_e32 v21, v14, v21                                // 0000000090A4: 0A2A2B0E
	v_accvgpr_write_b32 a220, v20                              // 0000000090A8: D3D940DC 18000114
	v_accvgpr_write_b32 a221, v21                              // 0000000090B0: D3D940DD 18000115
	v_accvgpr_read_b32 v20, a222                               // 0000000090B8: D3D84014 180001DE
	v_accvgpr_read_b32 v21, a223                               // 0000000090C0: D3D84015 180001DF
	v_mul_f32_e32 v20, v14, v20                                // 0000000090C8: 0A28290E
	v_mul_f32_e32 v21, v14, v21                                // 0000000090CC: 0A2A2B0E
	v_accvgpr_write_b32 a222, v20                              // 0000000090D0: D3D940DE 18000114
	v_accvgpr_write_b32 a223, v21                              // 0000000090D8: D3D940DF 18000115
	v_accvgpr_read_b32 v20, a224                               // 0000000090E0: D3D84014 180001E0
	v_accvgpr_read_b32 v21, a225                               // 0000000090E8: D3D84015 180001E1
	v_mul_f32_e32 v20, v14, v20                                // 0000000090F0: 0A28290E
	v_mul_f32_e32 v21, v14, v21                                // 0000000090F4: 0A2A2B0E
	v_accvgpr_write_b32 a224, v20                              // 0000000090F8: D3D940E0 18000114
	v_accvgpr_write_b32 a225, v21                              // 000000009100: D3D940E1 18000115
	v_accvgpr_read_b32 v20, a226                               // 000000009108: D3D84014 180001E2
	v_accvgpr_read_b32 v21, a227                               // 000000009110: D3D84015 180001E3
	v_mul_f32_e32 v20, v14, v20                                // 000000009118: 0A28290E
	v_mul_f32_e32 v21, v14, v21                                // 00000000911C: 0A2A2B0E
	v_accvgpr_write_b32 a226, v20                              // 000000009120: D3D940E2 18000114
	v_accvgpr_write_b32 a227, v21                              // 000000009128: D3D940E3 18000115
	v_accvgpr_read_b32 v20, a228                               // 000000009130: D3D84014 180001E4
	v_accvgpr_read_b32 v21, a229                               // 000000009138: D3D84015 180001E5
	v_mul_f32_e32 v20, v14, v20                                // 000000009140: 0A28290E
	v_mul_f32_e32 v21, v14, v21                                // 000000009144: 0A2A2B0E
	v_accvgpr_write_b32 a228, v20                              // 000000009148: D3D940E4 18000114
	v_accvgpr_write_b32 a229, v21                              // 000000009150: D3D940E5 18000115
	v_accvgpr_read_b32 v20, a230                               // 000000009158: D3D84014 180001E6
	v_accvgpr_read_b32 v21, a231                               // 000000009160: D3D84015 180001E7
	v_mul_f32_e32 v20, v14, v20                                // 000000009168: 0A28290E
	v_mul_f32_e32 v21, v14, v21                                // 00000000916C: 0A2A2B0E
	v_accvgpr_write_b32 a230, v20                              // 000000009170: D3D940E6 18000114
	v_accvgpr_write_b32 a231, v21                              // 000000009178: D3D940E7 18000115
	v_accvgpr_read_b32 v20, a232                               // 000000009180: D3D84014 180001E8
	v_accvgpr_read_b32 v21, a233                               // 000000009188: D3D84015 180001E9
	v_mul_f32_e32 v20, v14, v20                                // 000000009190: 0A28290E
	v_mul_f32_e32 v21, v14, v21                                // 000000009194: 0A2A2B0E
	v_accvgpr_write_b32 a232, v20                              // 000000009198: D3D940E8 18000114
	v_accvgpr_write_b32 a233, v21                              // 0000000091A0: D3D940E9 18000115
	v_accvgpr_read_b32 v20, a234                               // 0000000091A8: D3D84014 180001EA
	v_accvgpr_read_b32 v21, a235                               // 0000000091B0: D3D84015 180001EB
	v_mul_f32_e32 v20, v14, v20                                // 0000000091B8: 0A28290E
	v_mul_f32_e32 v21, v14, v21                                // 0000000091BC: 0A2A2B0E
	v_accvgpr_write_b32 a234, v20                              // 0000000091C0: D3D940EA 18000114
	v_accvgpr_write_b32 a235, v21                              // 0000000091C8: D3D940EB 18000115
	v_mul_f32_e32 v148, v15, v148                              // 0000000091D0: 0B29290F
	v_mul_f32_e32 v149, v15, v149                              // 0000000091D4: 0B2B2B0F
	v_mul_f32_e32 v150, v15, v150                              // 0000000091D8: 0B2D2D0F
	v_mul_f32_e32 v151, v15, v151                              // 0000000091DC: 0B2F2F0F
	v_mul_f32_e32 v152, v15, v152                              // 0000000091E0: 0B31310F
	v_mul_f32_e32 v153, v15, v153                              // 0000000091E4: 0B33330F
	v_mul_f32_e32 v154, v15, v154                              // 0000000091E8: 0B35350F
	v_mul_f32_e32 v155, v15, v155                              // 0000000091EC: 0B37370F
	v_mul_f32_e32 v156, v15, v156                              // 0000000091F0: 0B39390F
	v_mul_f32_e32 v157, v15, v157                              // 0000000091F4: 0B3B3B0F
	v_mul_f32_e32 v158, v15, v158                              // 0000000091F8: 0B3D3D0F
	v_mul_f32_e32 v159, v15, v159                              // 0000000091FC: 0B3F3F0F
	v_mul_f32_e32 v160, v15, v160                              // 000000009200: 0B41410F
	v_mul_f32_e32 v161, v15, v161                              // 000000009204: 0B43430F
	v_mul_f32_e32 v162, v15, v162                              // 000000009208: 0B45450F
	v_mul_f32_e32 v163, v15, v163                              // 00000000920C: 0B47470F
	v_mul_f32_e32 v164, v15, v164                              // 000000009210: 0B49490F
	v_mul_f32_e32 v165, v15, v165                              // 000000009214: 0B4B4B0F
	v_mul_f32_e32 v166, v15, v166                              // 000000009218: 0B4D4D0F
	v_mul_f32_e32 v167, v15, v167                              // 00000000921C: 0B4F4F0F
	v_mul_f32_e32 v168, v15, v168                              // 000000009220: 0B51510F
	v_mul_f32_e32 v169, v15, v169                              // 000000009224: 0B53530F
	v_mul_f32_e32 v170, v15, v170                              // 000000009228: 0B55550F
	v_mul_f32_e32 v171, v15, v171                              // 00000000922C: 0B57570F
	v_mul_f32_e32 v172, v15, v172                              // 000000009230: 0B59590F
	v_mul_f32_e32 v173, v15, v173                              // 000000009234: 0B5B5B0F
	v_mul_f32_e32 v174, v15, v174                              // 000000009238: 0B5D5D0F
	v_mul_f32_e32 v175, v15, v175                              // 00000000923C: 0B5F5F0F
	v_mul_f32_e32 v176, v15, v176                              // 000000009240: 0B61610F
	v_mul_f32_e32 v177, v15, v177                              // 000000009244: 0B63630F
	v_mul_f32_e32 v178, v15, v178                              // 000000009248: 0B65650F
	v_mul_f32_e32 v179, v15, v179                              // 00000000924C: 0B67670F
	v_mul_f32_e32 v180, v15, v180                              // 000000009250: 0B69690F
	v_mul_f32_e32 v181, v15, v181                              // 000000009254: 0B6B6B0F
	v_mul_f32_e32 v182, v15, v182                              // 000000009258: 0B6D6D0F
	v_mul_f32_e32 v183, v15, v183                              // 00000000925C: 0B6F6F0F
	v_mul_f32_e32 v184, v15, v184                              // 000000009260: 0B71710F
	v_mul_f32_e32 v185, v15, v185                              // 000000009264: 0B73730F
	v_mul_f32_e32 v186, v15, v186                              // 000000009268: 0B75750F
	v_mul_f32_e32 v187, v15, v187                              // 00000000926C: 0B77770F
	v_mul_f32_e32 v188, v15, v188                              // 000000009270: 0B79790F
	v_mul_f32_e32 v189, v15, v189                              // 000000009274: 0B7B7B0F
	v_mul_f32_e32 v190, v15, v190                              // 000000009278: 0B7D7D0F
	v_mul_f32_e32 v191, v15, v191                              // 00000000927C: 0B7F7F0F
	v_mul_f32_e32 v192, v15, v192                              // 000000009280: 0B81810F
	v_mul_f32_e32 v193, v15, v193                              // 000000009284: 0B83830F
	v_mul_f32_e32 v194, v15, v194                              // 000000009288: 0B85850F
	v_mul_f32_e32 v195, v15, v195                              // 00000000928C: 0B87870F
	v_mul_f32_e32 v196, v15, v196                              // 000000009290: 0B89890F
	v_mul_f32_e32 v197, v15, v197                              // 000000009294: 0B8B8B0F
	v_mul_f32_e32 v198, v15, v198                              // 000000009298: 0B8D8D0F
	v_mul_f32_e32 v199, v15, v199                              // 00000000929C: 0B8F8F0F
	v_mul_f32_e32 v200, v15, v200                              // 0000000092A0: 0B91910F
	v_mul_f32_e32 v201, v15, v201                              // 0000000092A4: 0B93930F
	v_mul_f32_e32 v202, v15, v202                              // 0000000092A8: 0B95950F
	v_mul_f32_e32 v203, v15, v203                              // 0000000092AC: 0B97970F
	v_mul_f32_e32 v204, v15, v204                              // 0000000092B0: 0B99990F
	v_mul_f32_e32 v205, v15, v205                              // 0000000092B4: 0B9B9B0F
	v_mul_f32_e32 v206, v15, v206                              // 0000000092B8: 0B9D9D0F
	v_mul_f32_e32 v207, v15, v207                              // 0000000092BC: 0B9F9F0F
	v_mul_f32_e32 v208, v15, v208                              // 0000000092C0: 0BA1A10F
	v_mul_f32_e32 v209, v15, v209                              // 0000000092C4: 0BA3A30F
	v_mul_f32_e32 v210, v15, v210                              // 0000000092C8: 0BA5A50F
	v_mul_f32_e32 v211, v15, v211                              // 0000000092CC: 0BA7A70F
	v_mul_f32_e32 v212, v15, v212                              // 0000000092D0: 0BA9A90F
	v_mul_f32_e32 v213, v15, v213                              // 0000000092D4: 0BABAB0F
	v_mul_f32_e32 v214, v15, v214                              // 0000000092D8: 0BADAD0F
	v_mul_f32_e32 v215, v15, v215                              // 0000000092DC: 0BAFAF0F
	v_mul_f32_e32 v216, v15, v216                              // 0000000092E0: 0BB1B10F
	v_mul_f32_e32 v217, v15, v217                              // 0000000092E4: 0BB3B30F
	v_mul_f32_e32 v218, v15, v218                              // 0000000092E8: 0BB5B50F
	v_mul_f32_e32 v219, v15, v219                              // 0000000092EC: 0BB7B70F
	v_mul_f32_e32 v220, v15, v220                              // 0000000092F0: 0BB9B90F
	v_mul_f32_e32 v221, v15, v221                              // 0000000092F4: 0BBBBB0F
	v_mul_f32_e32 v222, v15, v222                              // 0000000092F8: 0BBDBD0F
	v_mul_f32_e32 v223, v15, v223                              // 0000000092FC: 0BBFBF0F
	v_mul_f32_e32 v224, v15, v224                              // 000000009300: 0BC1C10F
	v_mul_f32_e32 v225, v15, v225                              // 000000009304: 0BC3C30F
	v_mul_f32_e32 v226, v15, v226                              // 000000009308: 0BC5C50F
	v_mul_f32_e32 v227, v15, v227                              // 00000000930C: 0BC7C70F
	v_mul_f32_e32 v228, v15, v228                              // 000000009310: 0BC9C90F
	v_mul_f32_e32 v229, v15, v229                              // 000000009314: 0BCBCB0F
	v_mul_f32_e32 v230, v15, v230                              // 000000009318: 0BCDCD0F
	v_mul_f32_e32 v231, v15, v231                              // 00000000931C: 0BCFCF0F
	v_mul_f32_e32 v232, v15, v232                              // 000000009320: 0BD1D10F
	v_mul_f32_e32 v233, v15, v233                              // 000000009324: 0BD3D30F
	v_mul_f32_e32 v234, v15, v234                              // 000000009328: 0BD5D50F
	v_mul_f32_e32 v235, v15, v235                              // 00000000932C: 0BD7D70F
	v_mul_f32_e32 v236, v15, v236                              // 000000009330: 0BD9D90F
	v_mul_f32_e32 v237, v15, v237                              // 000000009334: 0BDBDB0F
	v_mul_f32_e32 v238, v15, v238                              // 000000009338: 0BDDDD0F
	v_mul_f32_e32 v239, v15, v239                              // 00000000933C: 0BDFDF0F
	v_mul_f32_e32 v240, v15, v240                              // 000000009340: 0BE1E10F
	v_mul_f32_e32 v241, v15, v241                              // 000000009344: 0BE3E30F
	v_mul_f32_e32 v242, v15, v242                              // 000000009348: 0BE5E50F
	v_mul_f32_e32 v243, v15, v243                              // 00000000934C: 0BE7E70F
	v_mul_f32_e32 v244, v15, v244                              // 000000009350: 0BE9E90F
	v_mul_f32_e32 v245, v15, v245                              // 000000009354: 0BEBEB0F
	v_mul_f32_e32 v246, v15, v246                              // 000000009358: 0BEDED0F
	v_mul_f32_e32 v247, v15, v247                              // 00000000935C: 0BEFEF0F
	v_mul_f32_e32 v248, v15, v248                              // 000000009360: 0BF1F10F
	v_mul_f32_e32 v249, v15, v249                              // 000000009364: 0BF3F30F
	v_mul_f32_e32 v250, v15, v250                              // 000000009368: 0BF5F50F
	v_mul_f32_e32 v251, v15, v251                              // 00000000936C: 0BF7F70F
	v_mul_f32_e32 v252, v15, v252                              // 000000009370: 0BF9F90F
	v_mul_f32_e32 v253, v15, v253                              // 000000009374: 0BFBFB0F
	v_mul_f32_e32 v254, v15, v254                              // 000000009378: 0BFDFD0F
	v_mul_f32_e32 v255, v15, v255                              // 00000000937C: 0BFFFF0F
	v_accvgpr_read_b32 v20, a236                               // 000000009380: D3D84014 180001EC
	v_accvgpr_read_b32 v21, a237                               // 000000009388: D3D84015 180001ED
	v_mul_f32_e32 v20, v15, v20                                // 000000009390: 0A28290F
	v_mul_f32_e32 v21, v15, v21                                // 000000009394: 0A2A2B0F
	v_accvgpr_write_b32 a236, v20                              // 000000009398: D3D940EC 18000114
	v_accvgpr_write_b32 a237, v21                              // 0000000093A0: D3D940ED 18000115
	v_accvgpr_read_b32 v20, a238                               // 0000000093A8: D3D84014 180001EE
	v_accvgpr_read_b32 v21, a239                               // 0000000093B0: D3D84015 180001EF
	v_mul_f32_e32 v20, v15, v20                                // 0000000093B8: 0A28290F
	v_mul_f32_e32 v21, v15, v21                                // 0000000093BC: 0A2A2B0F
	v_accvgpr_write_b32 a238, v20                              // 0000000093C0: D3D940EE 18000114
	v_accvgpr_write_b32 a239, v21                              // 0000000093C8: D3D940EF 18000115
	v_accvgpr_read_b32 v20, a240                               // 0000000093D0: D3D84014 180001F0
	v_accvgpr_read_b32 v21, a241                               // 0000000093D8: D3D84015 180001F1
	v_mul_f32_e32 v20, v15, v20                                // 0000000093E0: 0A28290F
	v_mul_f32_e32 v21, v15, v21                                // 0000000093E4: 0A2A2B0F
	v_accvgpr_write_b32 a240, v20                              // 0000000093E8: D3D940F0 18000114
	v_accvgpr_write_b32 a241, v21                              // 0000000093F0: D3D940F1 18000115
	v_accvgpr_read_b32 v20, a242                               // 0000000093F8: D3D84014 180001F2
	v_accvgpr_read_b32 v21, a243                               // 000000009400: D3D84015 180001F3
	v_mul_f32_e32 v20, v15, v20                                // 000000009408: 0A28290F
	v_mul_f32_e32 v21, v15, v21                                // 00000000940C: 0A2A2B0F
	v_accvgpr_write_b32 a242, v20                              // 000000009410: D3D940F2 18000114
	v_accvgpr_write_b32 a243, v21                              // 000000009418: D3D940F3 18000115
	v_accvgpr_read_b32 v20, a244                               // 000000009420: D3D84014 180001F4
	v_accvgpr_read_b32 v21, a245                               // 000000009428: D3D84015 180001F5
	v_mul_f32_e32 v20, v15, v20                                // 000000009430: 0A28290F
	v_mul_f32_e32 v21, v15, v21                                // 000000009434: 0A2A2B0F
	v_accvgpr_write_b32 a244, v20                              // 000000009438: D3D940F4 18000114
	v_accvgpr_write_b32 a245, v21                              // 000000009440: D3D940F5 18000115
	v_accvgpr_read_b32 v20, a246                               // 000000009448: D3D84014 180001F6
	v_accvgpr_read_b32 v21, a247                               // 000000009450: D3D84015 180001F7
	v_mul_f32_e32 v20, v15, v20                                // 000000009458: 0A28290F
	v_mul_f32_e32 v21, v15, v21                                // 00000000945C: 0A2A2B0F
	v_accvgpr_write_b32 a246, v20                              // 000000009460: D3D940F6 18000114
	v_accvgpr_write_b32 a247, v21                              // 000000009468: D3D940F7 18000115
	v_accvgpr_read_b32 v20, a248                               // 000000009470: D3D84014 180001F8
	v_accvgpr_read_b32 v21, a249                               // 000000009478: D3D84015 180001F9
	v_mul_f32_e32 v20, v15, v20                                // 000000009480: 0A28290F
	v_mul_f32_e32 v21, v15, v21                                // 000000009484: 0A2A2B0F
	v_accvgpr_write_b32 a248, v20                              // 000000009488: D3D940F8 18000114
	v_accvgpr_write_b32 a249, v21                              // 000000009490: D3D940F9 18000115
	v_accvgpr_read_b32 v20, a250                               // 000000009498: D3D84014 180001FA
	v_accvgpr_read_b32 v21, a251                               // 0000000094A0: D3D84015 180001FB
	v_mul_f32_e32 v20, v15, v20                                // 0000000094A8: 0A28290F
	v_mul_f32_e32 v21, v15, v21                                // 0000000094AC: 0A2A2B0F
	v_accvgpr_write_b32 a250, v20                              // 0000000094B0: D3D940FA 18000114
	v_accvgpr_write_b32 a251, v21                              // 0000000094B8: D3D940FB 18000115
	v_accvgpr_read_b32 v20, a252                               // 0000000094C0: D3D84014 180001FC
	v_accvgpr_read_b32 v21, a253                               // 0000000094C8: D3D84015 180001FD
	v_mul_f32_e32 v20, v15, v20                                // 0000000094D0: 0A28290F
	v_mul_f32_e32 v21, v15, v21                                // 0000000094D4: 0A2A2B0F
	v_accvgpr_write_b32 a252, v20                              // 0000000094D8: D3D940FC 18000114
	v_accvgpr_write_b32 a253, v21                              // 0000000094E0: D3D940FD 18000115
	v_accvgpr_read_b32 v20, a254                               // 0000000094E8: D3D84014 180001FE
	v_accvgpr_read_b32 v21, a255                               // 0000000094F0: D3D84015 180001FF
	v_mul_f32_e32 v20, v15, v20                                // 0000000094F8: 0A28290F
	v_mul_f32_e32 v21, v15, v21                                // 0000000094FC: 0A2A2B0F
	v_accvgpr_write_b32 a254, v20                              // 000000009500: D3D940FE 18000114
	v_accvgpr_write_b32 a255, v21                              // 000000009508: D3D940FF 18000115
	s_cmp_le_u32 s67, 1                                        // 000000009510: BF0B8143
	s_cbranch_scc0 label_2B34                                  // 000000009514: BF8409EE
	s_mul_i32 s75, 0x400, s65                                  // 000000009518: 924B41FF 00000400
	s_mul_i32 s76, s67, s75                                    // 000000009520: 924C4B43
	s_add_u32 s56, s80, s79                                    // 000000009524: 80384F50
	v_mov_b32_e32 v20, s56                                     // 000000009528: 7E280238
	v_mul_lo_u32 v21, s76, v20                                 // 00000000952C: D2850015 0002284C
	v_mul_hi_u32 v22, s76, v20                                 // 000000009534: D2860016 0002284C
	s_nop 2                                                    // 00000000953C: BF800002
	v_readfirstlane_b32 s56, v21                               // 000000009540: 7E700515
	v_readfirstlane_b32 s57, v22                               // 000000009544: 7E720516
	s_nop 4                                                    // 000000009548: BF800004
	s_add_u32 s8, s56, s8                                      // 00000000954C: 80080838
	s_addc_u32 s9, s57, s9                                     // 000000009550: 82090939
	s_sub_u32 s56, s81, s80                                    // 000000009554: 80B85051
	s_mul_i32 s56, s56, s76                                    // 000000009558: 92384C38
	s_mov_b32 s10, s56                                         // 00000000955C: BE8A0038
	v_and_b32_e32 v20, 7, v0                                   // 000000009560: 26280087
	v_lshlrev_b32_e32 v18, 4, v20                              // 000000009564: 24242884
	v_lshrrev_b32_e32 v20, 3, v0                               // 000000009568: 20280083
	v_mul_i32_i24_e32 v20, 0x400, v20                          // 00000000956C: 0C2828FF 00000400
	v_add_u32_e32 v18, v18, v20                                // 000000009574: 68242912
	s_mul_i32 s56, s4, s75                                     // 000000009578: 92384B04
	v_add_u32_e64 v18, v18, s56                                // 00000000957C: D1340012 00007112
	s_mul_i32 s56, s7, 0x4000                                  // 000000009584: 9238FF07 00004000
	v_add_u32_e64 v18, v18, s56                                // 00000000958C: D1340012 00007112
	v_mov_b32_e32 v19, v18                                     // 000000009594: 7E260312
	s_waitcnt vmcnt(0) lgkmcnt(0)                              // 000000009598: BF8C0070
	s_barrier                                                  // 00000000959C: BF8A0000
	s_mul_i32 s75, 0x400, s65                                  // 0000000095A0: 924B41FF 00000400
	s_mul_i32 s76, s67, s75                                    // 0000000095A8: 924C4B43
	v_lshrrev_b32_e32 v20, 4, v0                               // 0000000095AC: 20280084
	v_mul_i32_i24_e32 v5, 0x48, v20                            // 0000000095B0: 0C0A28FF 00000048
	v_and_b32_e32 v20, 15, v0                                  // 0000000095B8: 2628008F
	v_mul_i32_i24_e32 v20, 2, v20                              // 0000000095BC: 0C282882
	v_add_u32_e32 v5, v20, v5                                  // 0000000095C0: 680A0B14
	s_mul_i32 s56, s7, 0x480                                   // 0000000095C4: 9238FF07 00000480
	v_add_u32_e32 v5, s56, v5                                  // 0000000095CC: 680A0A38
	v_lshlrev_b32_e32 v5, 2, v5                                // 0000000095D0: 240A0A82
	v_lshrrev_b32_e32 v20, 3, v0                               // 0000000095D4: 20280083
	v_mul_i32_i24_e32 v4, 2, v20                               // 0000000095D8: 0C082882
	v_and_b32_e32 v20, 7, v0                                   // 0000000095DC: 26280087
	v_mul_i32_i24_e32 v20, 36, v20                             // 0000000095E0: 0C2828A4
	v_add_u32_e32 v4, v20, v4                                  // 0000000095E4: 68080914
	s_mul_i32 s56, s7, 0x480                                   // 0000000095E8: 9238FF07 00000480
	v_add_u32_e32 v4, s56, v4                                  // 0000000095F0: 68080838
	v_lshlrev_b32_e32 v4, 2, v4                                // 0000000095F4: 24080882
	v_mov_b32_e32 v29, 0xffff0000                              // 0000000095F8: 7E3A02FF FFFF0000
	v_mov_b32_e32 v30, 0x7fff0000                              // 000000009600: 7E3C02FF 7FFF0000
	v_mov_b32_e32 v31, 0x7fff                                  // 000000009608: 7E3E02FF 00007FFF
	s_mov_b32 s56, 0                                           // 000000009610: BEB80080
	v_add_u32_e64 v19, v19, s56                                // 000000009614: D1340013 00007113
	v_mov_b32_e32 v24, v40                                     // 00000000961C: 7E300328
	v_mov_b32_e32 v25, v44                                     // 000000009620: 7E32032C
	v_mov_b32_e32 v26, v48                                     // 000000009624: 7E340330
	v_mov_b32_e32 v27, v52                                     // 000000009628: 7E360334
	v_cmp_u_f32_e64 s[38:39], v24, v24                         // 00000000962C: D0480026 00023118
	v_add3_u32 v28, v24, v31, 1                                // 000000009634: D1FF001C 02063F18
	v_cndmask_b32_e64 v20, v28, v30, s[38:39]                  // 00000000963C: D1000014 009A3D1C
	v_cmp_u_f32_e64 s[38:39], v25, v25                         // 000000009644: D0480026 00023319
	v_add3_u32 v28, v25, v31, 1                                // 00000000964C: D1FF001C 02063F19
	v_cndmask_b32_e64 v21, v28, v30, s[38:39]                  // 000000009654: D1000015 009A3D1C
	v_perm_b32 v24, v21, v20, s52                              // 00000000965C: D1ED0018 00D22915
	v_cmp_u_f32_e64 s[38:39], v26, v26                         // 000000009664: D0480026 0002351A
	v_add3_u32 v28, v26, v31, 1                                // 00000000966C: D1FF001C 02063F1A
	v_cndmask_b32_e64 v20, v28, v30, s[38:39]                  // 000000009674: D1000014 009A3D1C
	v_cmp_u_f32_e64 s[38:39], v27, v27                         // 00000000967C: D0480026 0002371B
	v_add3_u32 v28, v27, v31, 1                                // 000000009684: D1FF001C 02063F1B
	v_cndmask_b32_e64 v21, v28, v30, s[38:39]                  // 00000000968C: D1000015 009A3D1C
	v_perm_b32 v25, v21, v20, s52                              // 000000009694: D1ED0019 00D22915
	ds_write_b64 v5, v[24:25]                                  // 00000000969C: D89A0000 00001805
	v_mov_b32_e32 v24, v41                                     // 0000000096A4: 7E300329
	v_mov_b32_e32 v25, v45                                     // 0000000096A8: 7E32032D
	v_mov_b32_e32 v26, v49                                     // 0000000096AC: 7E340331
	v_mov_b32_e32 v27, v53                                     // 0000000096B0: 7E360335
	v_cmp_u_f32_e64 s[38:39], v24, v24                         // 0000000096B4: D0480026 00023118
	v_add3_u32 v28, v24, v31, 1                                // 0000000096BC: D1FF001C 02063F18
	v_cndmask_b32_e64 v20, v28, v30, s[38:39]                  // 0000000096C4: D1000014 009A3D1C
	v_cmp_u_f32_e64 s[38:39], v25, v25                         // 0000000096CC: D0480026 00023319
	v_add3_u32 v28, v25, v31, 1                                // 0000000096D4: D1FF001C 02063F19
	v_cndmask_b32_e64 v21, v28, v30, s[38:39]                  // 0000000096DC: D1000015 009A3D1C
	v_perm_b32 v24, v21, v20, s52                              // 0000000096E4: D1ED0018 00D22915
	v_cmp_u_f32_e64 s[38:39], v26, v26                         // 0000000096EC: D0480026 0002351A
	v_add3_u32 v28, v26, v31, 1                                // 0000000096F4: D1FF001C 02063F1A
	v_cndmask_b32_e64 v20, v28, v30, s[38:39]                  // 0000000096FC: D1000014 009A3D1C
	v_cmp_u_f32_e64 s[38:39], v27, v27                         // 000000009704: D0480026 0002371B
	v_add3_u32 v28, v27, v31, 1                                // 00000000970C: D1FF001C 02063F1B
	v_cndmask_b32_e64 v21, v28, v30, s[38:39]                  // 000000009714: D1000015 009A3D1C
	v_perm_b32 v25, v21, v20, s52                              // 00000000971C: D1ED0019 00D22915
	ds_write_b64 v5, v[24:25] offset:1152                      // 000000009724: D89A0480 00001805
	v_mov_b32_e32 v24, v42                                     // 00000000972C: 7E30032A
	v_mov_b32_e32 v25, v46                                     // 000000009730: 7E32032E
	v_mov_b32_e32 v26, v50                                     // 000000009734: 7E340332
	v_mov_b32_e32 v27, v54                                     // 000000009738: 7E360336
	v_cmp_u_f32_e64 s[38:39], v24, v24                         // 00000000973C: D0480026 00023118
	v_add3_u32 v28, v24, v31, 1                                // 000000009744: D1FF001C 02063F18
	v_cndmask_b32_e64 v20, v28, v30, s[38:39]                  // 00000000974C: D1000014 009A3D1C
	v_cmp_u_f32_e64 s[38:39], v25, v25                         // 000000009754: D0480026 00023319
	v_add3_u32 v28, v25, v31, 1                                // 00000000975C: D1FF001C 02063F19
	v_cndmask_b32_e64 v21, v28, v30, s[38:39]                  // 000000009764: D1000015 009A3D1C
	v_perm_b32 v24, v21, v20, s52                              // 00000000976C: D1ED0018 00D22915
	v_cmp_u_f32_e64 s[38:39], v26, v26                         // 000000009774: D0480026 0002351A
	v_add3_u32 v28, v26, v31, 1                                // 00000000977C: D1FF001C 02063F1A
	v_cndmask_b32_e64 v20, v28, v30, s[38:39]                  // 000000009784: D1000014 009A3D1C
	v_cmp_u_f32_e64 s[38:39], v27, v27                         // 00000000978C: D0480026 0002371B
	v_add3_u32 v28, v27, v31, 1                                // 000000009794: D1FF001C 02063F1B
	v_cndmask_b32_e64 v21, v28, v30, s[38:39]                  // 00000000979C: D1000015 009A3D1C
	v_perm_b32 v25, v21, v20, s52                              // 0000000097A4: D1ED0019 00D22915
	ds_write_b64 v5, v[24:25] offset:144                       // 0000000097AC: D89A0090 00001805
	v_mov_b32_e32 v24, v43                                     // 0000000097B4: 7E30032B
	v_mov_b32_e32 v25, v47                                     // 0000000097B8: 7E32032F
	v_mov_b32_e32 v26, v51                                     // 0000000097BC: 7E340333
	v_mov_b32_e32 v27, v55                                     // 0000000097C0: 7E360337
	v_cmp_u_f32_e64 s[38:39], v24, v24                         // 0000000097C4: D0480026 00023118
	v_add3_u32 v28, v24, v31, 1                                // 0000000097CC: D1FF001C 02063F18
	v_cndmask_b32_e64 v20, v28, v30, s[38:39]                  // 0000000097D4: D1000014 009A3D1C
	v_cmp_u_f32_e64 s[38:39], v25, v25                         // 0000000097DC: D0480026 00023319
	v_add3_u32 v28, v25, v31, 1                                // 0000000097E4: D1FF001C 02063F19
	v_cndmask_b32_e64 v21, v28, v30, s[38:39]                  // 0000000097EC: D1000015 009A3D1C
	v_perm_b32 v24, v21, v20, s52                              // 0000000097F4: D1ED0018 00D22915
	v_cmp_u_f32_e64 s[38:39], v26, v26                         // 0000000097FC: D0480026 0002351A
	v_add3_u32 v28, v26, v31, 1                                // 000000009804: D1FF001C 02063F1A
	v_cndmask_b32_e64 v20, v28, v30, s[38:39]                  // 00000000980C: D1000014 009A3D1C
	v_cmp_u_f32_e64 s[38:39], v27, v27                         // 000000009814: D0480026 0002371B
	v_add3_u32 v28, v27, v31, 1                                // 00000000981C: D1FF001C 02063F1B
	v_cndmask_b32_e64 v21, v28, v30, s[38:39]                  // 000000009824: D1000015 009A3D1C
	v_perm_b32 v25, v21, v20, s52                              // 00000000982C: D1ED0019 00D22915
	ds_write_b64 v5, v[24:25] offset:1296                      // 000000009834: D89A0510 00001805
	v_mov_b32_e32 v24, v56                                     // 00000000983C: 7E300338
	v_mov_b32_e32 v25, v60                                     // 000000009840: 7E32033C
	v_mov_b32_e32 v26, v64                                     // 000000009844: 7E340340
	v_mov_b32_e32 v27, v68                                     // 000000009848: 7E360344
	v_cmp_u_f32_e64 s[38:39], v24, v24                         // 00000000984C: D0480026 00023118
	v_add3_u32 v28, v24, v31, 1                                // 000000009854: D1FF001C 02063F18
	v_cndmask_b32_e64 v20, v28, v30, s[38:39]                  // 00000000985C: D1000014 009A3D1C
	v_cmp_u_f32_e64 s[38:39], v25, v25                         // 000000009864: D0480026 00023319
	v_add3_u32 v28, v25, v31, 1                                // 00000000986C: D1FF001C 02063F19
	v_cndmask_b32_e64 v21, v28, v30, s[38:39]                  // 000000009874: D1000015 009A3D1C
	v_perm_b32 v24, v21, v20, s52                              // 00000000987C: D1ED0018 00D22915
	v_cmp_u_f32_e64 s[38:39], v26, v26                         // 000000009884: D0480026 0002351A
	v_add3_u32 v28, v26, v31, 1                                // 00000000988C: D1FF001C 02063F1A
	v_cndmask_b32_e64 v20, v28, v30, s[38:39]                  // 000000009894: D1000014 009A3D1C
	v_cmp_u_f32_e64 s[38:39], v27, v27                         // 00000000989C: D0480026 0002371B
	v_add3_u32 v28, v27, v31, 1                                // 0000000098A4: D1FF001C 02063F1B
	v_cndmask_b32_e64 v21, v28, v30, s[38:39]                  // 0000000098AC: D1000015 009A3D1C
	v_perm_b32 v25, v21, v20, s52                              // 0000000098B4: D1ED0019 00D22915
	ds_write_b64 v5, v[24:25] offset:2304                      // 0000000098BC: D89A0900 00001805
	v_mov_b32_e32 v24, v57                                     // 0000000098C4: 7E300339
	v_mov_b32_e32 v25, v61                                     // 0000000098C8: 7E32033D
	v_mov_b32_e32 v26, v65                                     // 0000000098CC: 7E340341
	v_mov_b32_e32 v27, v69                                     // 0000000098D0: 7E360345
	v_cmp_u_f32_e64 s[38:39], v24, v24                         // 0000000098D4: D0480026 00023118
	v_add3_u32 v28, v24, v31, 1                                // 0000000098DC: D1FF001C 02063F18
	v_cndmask_b32_e64 v20, v28, v30, s[38:39]                  // 0000000098E4: D1000014 009A3D1C
	v_cmp_u_f32_e64 s[38:39], v25, v25                         // 0000000098EC: D0480026 00023319
	v_add3_u32 v28, v25, v31, 1                                // 0000000098F4: D1FF001C 02063F19
	v_cndmask_b32_e64 v21, v28, v30, s[38:39]                  // 0000000098FC: D1000015 009A3D1C
	v_perm_b32 v24, v21, v20, s52                              // 000000009904: D1ED0018 00D22915
	v_cmp_u_f32_e64 s[38:39], v26, v26                         // 00000000990C: D0480026 0002351A
	v_add3_u32 v28, v26, v31, 1                                // 000000009914: D1FF001C 02063F1A
	v_cndmask_b32_e64 v20, v28, v30, s[38:39]                  // 00000000991C: D1000014 009A3D1C
	v_cmp_u_f32_e64 s[38:39], v27, v27                         // 000000009924: D0480026 0002371B
	v_add3_u32 v28, v27, v31, 1                                // 00000000992C: D1FF001C 02063F1B
	v_cndmask_b32_e64 v21, v28, v30, s[38:39]                  // 000000009934: D1000015 009A3D1C
	v_perm_b32 v25, v21, v20, s52                              // 00000000993C: D1ED0019 00D22915
	ds_write_b64 v5, v[24:25] offset:3456                      // 000000009944: D89A0D80 00001805
	v_mov_b32_e32 v24, v58                                     // 00000000994C: 7E30033A
	v_mov_b32_e32 v25, v62                                     // 000000009950: 7E32033E
	v_mov_b32_e32 v26, v66                                     // 000000009954: 7E340342
	v_mov_b32_e32 v27, v70                                     // 000000009958: 7E360346
	v_cmp_u_f32_e64 s[38:39], v24, v24                         // 00000000995C: D0480026 00023118
	v_add3_u32 v28, v24, v31, 1                                // 000000009964: D1FF001C 02063F18
	v_cndmask_b32_e64 v20, v28, v30, s[38:39]                  // 00000000996C: D1000014 009A3D1C
	v_cmp_u_f32_e64 s[38:39], v25, v25                         // 000000009974: D0480026 00023319
	v_add3_u32 v28, v25, v31, 1                                // 00000000997C: D1FF001C 02063F19
	v_cndmask_b32_e64 v21, v28, v30, s[38:39]                  // 000000009984: D1000015 009A3D1C
	v_perm_b32 v24, v21, v20, s52                              // 00000000998C: D1ED0018 00D22915
	v_cmp_u_f32_e64 s[38:39], v26, v26                         // 000000009994: D0480026 0002351A
	v_add3_u32 v28, v26, v31, 1                                // 00000000999C: D1FF001C 02063F1A
	v_cndmask_b32_e64 v20, v28, v30, s[38:39]                  // 0000000099A4: D1000014 009A3D1C
	v_cmp_u_f32_e64 s[38:39], v27, v27                         // 0000000099AC: D0480026 0002371B
	v_add3_u32 v28, v27, v31, 1                                // 0000000099B4: D1FF001C 02063F1B
	v_cndmask_b32_e64 v21, v28, v30, s[38:39]                  // 0000000099BC: D1000015 009A3D1C
	v_perm_b32 v25, v21, v20, s52                              // 0000000099C4: D1ED0019 00D22915
	ds_write_b64 v5, v[24:25] offset:2448                      // 0000000099CC: D89A0990 00001805
	v_mov_b32_e32 v24, v59                                     // 0000000099D4: 7E30033B
	v_mov_b32_e32 v25, v63                                     // 0000000099D8: 7E32033F
	v_mov_b32_e32 v26, v67                                     // 0000000099DC: 7E340343
	v_mov_b32_e32 v27, v71                                     // 0000000099E0: 7E360347
	v_cmp_u_f32_e64 s[38:39], v24, v24                         // 0000000099E4: D0480026 00023118
	v_add3_u32 v28, v24, v31, 1                                // 0000000099EC: D1FF001C 02063F18
	v_cndmask_b32_e64 v20, v28, v30, s[38:39]                  // 0000000099F4: D1000014 009A3D1C
	v_cmp_u_f32_e64 s[38:39], v25, v25                         // 0000000099FC: D0480026 00023319
	v_add3_u32 v28, v25, v31, 1                                // 000000009A04: D1FF001C 02063F19
	v_cndmask_b32_e64 v21, v28, v30, s[38:39]                  // 000000009A0C: D1000015 009A3D1C
	v_perm_b32 v24, v21, v20, s52                              // 000000009A14: D1ED0018 00D22915
	v_cmp_u_f32_e64 s[38:39], v26, v26                         // 000000009A1C: D0480026 0002351A
	v_add3_u32 v28, v26, v31, 1                                // 000000009A24: D1FF001C 02063F1A
	v_cndmask_b32_e64 v20, v28, v30, s[38:39]                  // 000000009A2C: D1000014 009A3D1C
	v_cmp_u_f32_e64 s[38:39], v27, v27                         // 000000009A34: D0480026 0002371B
	v_add3_u32 v28, v27, v31, 1                                // 000000009A3C: D1FF001C 02063F1B
	v_cndmask_b32_e64 v21, v28, v30, s[38:39]                  // 000000009A44: D1000015 009A3D1C
	v_perm_b32 v25, v21, v20, s52                              // 000000009A4C: D1ED0019 00D22915
	ds_write_b64 v5, v[24:25] offset:3600                      // 000000009A54: D89A0E10 00001805
	s_waitcnt lgkmcnt(4)                                       // 000000009A5C: BF8CC47F
	ds_read_b64 v[40:41], v4                                   // 000000009A60: D8EC0000 28000004
	ds_read_b64 v[44:45], v4 offset:64                         // 000000009A68: D8EC0040 2C000004
	ds_read_b64 v[42:43], v4 offset:1152                       // 000000009A70: D8EC0480 2A000004
	ds_read_b64 v[46:47], v4 offset:1216                       // 000000009A78: D8EC04C0 2E000004
	s_waitcnt lgkmcnt(4)                                       // 000000009A80: BF8CC47F
	ds_read_b64 v[48:49], v4 offset:2304                       // 000000009A84: D8EC0900 30000004
	ds_read_b64 v[52:53], v4 offset:2368                       // 000000009A8C: D8EC0940 34000004
	ds_read_b64 v[50:51], v4 offset:3456                       // 000000009A94: D8EC0D80 32000004
	ds_read_b64 v[54:55], v4 offset:3520                       // 000000009A9C: D8EC0DC0 36000004
	s_waitcnt lgkmcnt(0)                                       // 000000009AA4: BF8CC07F
	v_mov_b32_e32 v18, v19                                     // 000000009AA8: 7E240313
	buffer_store_dwordx4 v[40:43], v18, s[8:11], 0 offen       // 000000009AAC: E07C1000 80022812
	buffer_store_dwordx4 v[48:51], v18, s[8:11], 0 offen offset:128// 000000009AB4: E07C1080 80023012
	v_add_u32_e32 v18, 0x2000, v18                             // 000000009ABC: 682424FF 00002000
	buffer_store_dwordx4 v[44:47], v18, s[8:11], 0 offen       // 000000009AC4: E07C1000 80022C12
	buffer_store_dwordx4 v[52:55], v18, s[8:11], 0 offen offset:128// 000000009ACC: E07C1080 80023412
	v_add_u32_e32 v18, 0x2000, v18                             // 000000009AD4: 682424FF 00002000
	v_mov_b32_e32 v24, v72                                     // 000000009ADC: 7E300348
	v_mov_b32_e32 v25, v76                                     // 000000009AE0: 7E32034C
	v_mov_b32_e32 v26, v80                                     // 000000009AE4: 7E340350
	v_mov_b32_e32 v27, v84                                     // 000000009AE8: 7E360354
	v_cmp_u_f32_e64 s[38:39], v24, v24                         // 000000009AEC: D0480026 00023118
	v_add3_u32 v28, v24, v31, 1                                // 000000009AF4: D1FF001C 02063F18
	v_cndmask_b32_e64 v20, v28, v30, s[38:39]                  // 000000009AFC: D1000014 009A3D1C
	v_cmp_u_f32_e64 s[38:39], v25, v25                         // 000000009B04: D0480026 00023319
	v_add3_u32 v28, v25, v31, 1                                // 000000009B0C: D1FF001C 02063F19
	v_cndmask_b32_e64 v21, v28, v30, s[38:39]                  // 000000009B14: D1000015 009A3D1C
	v_perm_b32 v24, v21, v20, s52                              // 000000009B1C: D1ED0018 00D22915
	v_cmp_u_f32_e64 s[38:39], v26, v26                         // 000000009B24: D0480026 0002351A
	v_add3_u32 v28, v26, v31, 1                                // 000000009B2C: D1FF001C 02063F1A
	v_cndmask_b32_e64 v20, v28, v30, s[38:39]                  // 000000009B34: D1000014 009A3D1C
	v_cmp_u_f32_e64 s[38:39], v27, v27                         // 000000009B3C: D0480026 0002371B
	v_add3_u32 v28, v27, v31, 1                                // 000000009B44: D1FF001C 02063F1B
	v_cndmask_b32_e64 v21, v28, v30, s[38:39]                  // 000000009B4C: D1000015 009A3D1C
	v_perm_b32 v25, v21, v20, s52                              // 000000009B54: D1ED0019 00D22915
	ds_write_b64 v5, v[24:25]                                  // 000000009B5C: D89A0000 00001805
	v_mov_b32_e32 v24, v73                                     // 000000009B64: 7E300349
	v_mov_b32_e32 v25, v77                                     // 000000009B68: 7E32034D
	v_mov_b32_e32 v26, v81                                     // 000000009B6C: 7E340351
	v_mov_b32_e32 v27, v85                                     // 000000009B70: 7E360355
	v_cmp_u_f32_e64 s[38:39], v24, v24                         // 000000009B74: D0480026 00023118
	v_add3_u32 v28, v24, v31, 1                                // 000000009B7C: D1FF001C 02063F18
	v_cndmask_b32_e64 v20, v28, v30, s[38:39]                  // 000000009B84: D1000014 009A3D1C
	v_cmp_u_f32_e64 s[38:39], v25, v25                         // 000000009B8C: D0480026 00023319
	v_add3_u32 v28, v25, v31, 1                                // 000000009B94: D1FF001C 02063F19
	v_cndmask_b32_e64 v21, v28, v30, s[38:39]                  // 000000009B9C: D1000015 009A3D1C
	v_perm_b32 v24, v21, v20, s52                              // 000000009BA4: D1ED0018 00D22915
	v_cmp_u_f32_e64 s[38:39], v26, v26                         // 000000009BAC: D0480026 0002351A
	v_add3_u32 v28, v26, v31, 1                                // 000000009BB4: D1FF001C 02063F1A
	v_cndmask_b32_e64 v20, v28, v30, s[38:39]                  // 000000009BBC: D1000014 009A3D1C
	v_cmp_u_f32_e64 s[38:39], v27, v27                         // 000000009BC4: D0480026 0002371B
	v_add3_u32 v28, v27, v31, 1                                // 000000009BCC: D1FF001C 02063F1B
	v_cndmask_b32_e64 v21, v28, v30, s[38:39]                  // 000000009BD4: D1000015 009A3D1C
	v_perm_b32 v25, v21, v20, s52                              // 000000009BDC: D1ED0019 00D22915
	ds_write_b64 v5, v[24:25] offset:1152                      // 000000009BE4: D89A0480 00001805
	v_mov_b32_e32 v24, v74                                     // 000000009BEC: 7E30034A
	v_mov_b32_e32 v25, v78                                     // 000000009BF0: 7E32034E
	v_mov_b32_e32 v26, v82                                     // 000000009BF4: 7E340352
	v_mov_b32_e32 v27, v86                                     // 000000009BF8: 7E360356
	v_cmp_u_f32_e64 s[38:39], v24, v24                         // 000000009BFC: D0480026 00023118
	v_add3_u32 v28, v24, v31, 1                                // 000000009C04: D1FF001C 02063F18
	v_cndmask_b32_e64 v20, v28, v30, s[38:39]                  // 000000009C0C: D1000014 009A3D1C
	v_cmp_u_f32_e64 s[38:39], v25, v25                         // 000000009C14: D0480026 00023319
	v_add3_u32 v28, v25, v31, 1                                // 000000009C1C: D1FF001C 02063F19
	v_cndmask_b32_e64 v21, v28, v30, s[38:39]                  // 000000009C24: D1000015 009A3D1C
	v_perm_b32 v24, v21, v20, s52                              // 000000009C2C: D1ED0018 00D22915
	v_cmp_u_f32_e64 s[38:39], v26, v26                         // 000000009C34: D0480026 0002351A
	v_add3_u32 v28, v26, v31, 1                                // 000000009C3C: D1FF001C 02063F1A
	v_cndmask_b32_e64 v20, v28, v30, s[38:39]                  // 000000009C44: D1000014 009A3D1C
	v_cmp_u_f32_e64 s[38:39], v27, v27                         // 000000009C4C: D0480026 0002371B
	v_add3_u32 v28, v27, v31, 1                                // 000000009C54: D1FF001C 02063F1B
	v_cndmask_b32_e64 v21, v28, v30, s[38:39]                  // 000000009C5C: D1000015 009A3D1C
	v_perm_b32 v25, v21, v20, s52                              // 000000009C64: D1ED0019 00D22915
	ds_write_b64 v5, v[24:25] offset:144                       // 000000009C6C: D89A0090 00001805
	v_mov_b32_e32 v24, v75                                     // 000000009C74: 7E30034B
	v_mov_b32_e32 v25, v79                                     // 000000009C78: 7E32034F
	v_mov_b32_e32 v26, v83                                     // 000000009C7C: 7E340353
	v_mov_b32_e32 v27, v87                                     // 000000009C80: 7E360357
	v_cmp_u_f32_e64 s[38:39], v24, v24                         // 000000009C84: D0480026 00023118
	v_add3_u32 v28, v24, v31, 1                                // 000000009C8C: D1FF001C 02063F18
	v_cndmask_b32_e64 v20, v28, v30, s[38:39]                  // 000000009C94: D1000014 009A3D1C
	v_cmp_u_f32_e64 s[38:39], v25, v25                         // 000000009C9C: D0480026 00023319
	v_add3_u32 v28, v25, v31, 1                                // 000000009CA4: D1FF001C 02063F19
	v_cndmask_b32_e64 v21, v28, v30, s[38:39]                  // 000000009CAC: D1000015 009A3D1C
	v_perm_b32 v24, v21, v20, s52                              // 000000009CB4: D1ED0018 00D22915
	v_cmp_u_f32_e64 s[38:39], v26, v26                         // 000000009CBC: D0480026 0002351A
	v_add3_u32 v28, v26, v31, 1                                // 000000009CC4: D1FF001C 02063F1A
	v_cndmask_b32_e64 v20, v28, v30, s[38:39]                  // 000000009CCC: D1000014 009A3D1C
	v_cmp_u_f32_e64 s[38:39], v27, v27                         // 000000009CD4: D0480026 0002371B
	v_add3_u32 v28, v27, v31, 1                                // 000000009CDC: D1FF001C 02063F1B
	v_cndmask_b32_e64 v21, v28, v30, s[38:39]                  // 000000009CE4: D1000015 009A3D1C
	v_perm_b32 v25, v21, v20, s52                              // 000000009CEC: D1ED0019 00D22915
	ds_write_b64 v5, v[24:25] offset:1296                      // 000000009CF4: D89A0510 00001805
	v_mov_b32_e32 v24, v88                                     // 000000009CFC: 7E300358
	v_mov_b32_e32 v25, v92                                     // 000000009D00: 7E32035C
	v_mov_b32_e32 v26, v96                                     // 000000009D04: 7E340360
	v_mov_b32_e32 v27, v100                                    // 000000009D08: 7E360364
	v_cmp_u_f32_e64 s[38:39], v24, v24                         // 000000009D0C: D0480026 00023118
	v_add3_u32 v28, v24, v31, 1                                // 000000009D14: D1FF001C 02063F18
	v_cndmask_b32_e64 v20, v28, v30, s[38:39]                  // 000000009D1C: D1000014 009A3D1C
	v_cmp_u_f32_e64 s[38:39], v25, v25                         // 000000009D24: D0480026 00023319
	v_add3_u32 v28, v25, v31, 1                                // 000000009D2C: D1FF001C 02063F19
	v_cndmask_b32_e64 v21, v28, v30, s[38:39]                  // 000000009D34: D1000015 009A3D1C
	v_perm_b32 v24, v21, v20, s52                              // 000000009D3C: D1ED0018 00D22915
	v_cmp_u_f32_e64 s[38:39], v26, v26                         // 000000009D44: D0480026 0002351A
	v_add3_u32 v28, v26, v31, 1                                // 000000009D4C: D1FF001C 02063F1A
	v_cndmask_b32_e64 v20, v28, v30, s[38:39]                  // 000000009D54: D1000014 009A3D1C
	v_cmp_u_f32_e64 s[38:39], v27, v27                         // 000000009D5C: D0480026 0002371B
	v_add3_u32 v28, v27, v31, 1                                // 000000009D64: D1FF001C 02063F1B
	v_cndmask_b32_e64 v21, v28, v30, s[38:39]                  // 000000009D6C: D1000015 009A3D1C
	v_perm_b32 v25, v21, v20, s52                              // 000000009D74: D1ED0019 00D22915
	ds_write_b64 v5, v[24:25] offset:2304                      // 000000009D7C: D89A0900 00001805
	v_mov_b32_e32 v24, v89                                     // 000000009D84: 7E300359
	v_mov_b32_e32 v25, v93                                     // 000000009D88: 7E32035D
	v_mov_b32_e32 v26, v97                                     // 000000009D8C: 7E340361
	v_mov_b32_e32 v27, v101                                    // 000000009D90: 7E360365
	v_cmp_u_f32_e64 s[38:39], v24, v24                         // 000000009D94: D0480026 00023118
	v_add3_u32 v28, v24, v31, 1                                // 000000009D9C: D1FF001C 02063F18
	v_cndmask_b32_e64 v20, v28, v30, s[38:39]                  // 000000009DA4: D1000014 009A3D1C
	v_cmp_u_f32_e64 s[38:39], v25, v25                         // 000000009DAC: D0480026 00023319
	v_add3_u32 v28, v25, v31, 1                                // 000000009DB4: D1FF001C 02063F19
	v_cndmask_b32_e64 v21, v28, v30, s[38:39]                  // 000000009DBC: D1000015 009A3D1C
	v_perm_b32 v24, v21, v20, s52                              // 000000009DC4: D1ED0018 00D22915
	v_cmp_u_f32_e64 s[38:39], v26, v26                         // 000000009DCC: D0480026 0002351A
	v_add3_u32 v28, v26, v31, 1                                // 000000009DD4: D1FF001C 02063F1A
	v_cndmask_b32_e64 v20, v28, v30, s[38:39]                  // 000000009DDC: D1000014 009A3D1C
	v_cmp_u_f32_e64 s[38:39], v27, v27                         // 000000009DE4: D0480026 0002371B
	v_add3_u32 v28, v27, v31, 1                                // 000000009DEC: D1FF001C 02063F1B
	v_cndmask_b32_e64 v21, v28, v30, s[38:39]                  // 000000009DF4: D1000015 009A3D1C
	v_perm_b32 v25, v21, v20, s52                              // 000000009DFC: D1ED0019 00D22915
	ds_write_b64 v5, v[24:25] offset:3456                      // 000000009E04: D89A0D80 00001805
	v_mov_b32_e32 v24, v90                                     // 000000009E0C: 7E30035A
	v_mov_b32_e32 v25, v94                                     // 000000009E10: 7E32035E
	v_mov_b32_e32 v26, v98                                     // 000000009E14: 7E340362
	v_mov_b32_e32 v27, v102                                    // 000000009E18: 7E360366
	v_cmp_u_f32_e64 s[38:39], v24, v24                         // 000000009E1C: D0480026 00023118
	v_add3_u32 v28, v24, v31, 1                                // 000000009E24: D1FF001C 02063F18
	v_cndmask_b32_e64 v20, v28, v30, s[38:39]                  // 000000009E2C: D1000014 009A3D1C
	v_cmp_u_f32_e64 s[38:39], v25, v25                         // 000000009E34: D0480026 00023319
	v_add3_u32 v28, v25, v31, 1                                // 000000009E3C: D1FF001C 02063F19
	v_cndmask_b32_e64 v21, v28, v30, s[38:39]                  // 000000009E44: D1000015 009A3D1C
	v_perm_b32 v24, v21, v20, s52                              // 000000009E4C: D1ED0018 00D22915
	v_cmp_u_f32_e64 s[38:39], v26, v26                         // 000000009E54: D0480026 0002351A
	v_add3_u32 v28, v26, v31, 1                                // 000000009E5C: D1FF001C 02063F1A
	v_cndmask_b32_e64 v20, v28, v30, s[38:39]                  // 000000009E64: D1000014 009A3D1C
	v_cmp_u_f32_e64 s[38:39], v27, v27                         // 000000009E6C: D0480026 0002371B
	v_add3_u32 v28, v27, v31, 1                                // 000000009E74: D1FF001C 02063F1B
	v_cndmask_b32_e64 v21, v28, v30, s[38:39]                  // 000000009E7C: D1000015 009A3D1C
	v_perm_b32 v25, v21, v20, s52                              // 000000009E84: D1ED0019 00D22915
	ds_write_b64 v5, v[24:25] offset:2448                      // 000000009E8C: D89A0990 00001805
	v_mov_b32_e32 v24, v91                                     // 000000009E94: 7E30035B
	v_mov_b32_e32 v25, v95                                     // 000000009E98: 7E32035F
	v_mov_b32_e32 v26, v99                                     // 000000009E9C: 7E340363
	v_mov_b32_e32 v27, v103                                    // 000000009EA0: 7E360367
	v_cmp_u_f32_e64 s[38:39], v24, v24                         // 000000009EA4: D0480026 00023118
	v_add3_u32 v28, v24, v31, 1                                // 000000009EAC: D1FF001C 02063F18
	v_cndmask_b32_e64 v20, v28, v30, s[38:39]                  // 000000009EB4: D1000014 009A3D1C
	v_cmp_u_f32_e64 s[38:39], v25, v25                         // 000000009EBC: D0480026 00023319
	v_add3_u32 v28, v25, v31, 1                                // 000000009EC4: D1FF001C 02063F19
	v_cndmask_b32_e64 v21, v28, v30, s[38:39]                  // 000000009ECC: D1000015 009A3D1C
	v_perm_b32 v24, v21, v20, s52                              // 000000009ED4: D1ED0018 00D22915
	v_cmp_u_f32_e64 s[38:39], v26, v26                         // 000000009EDC: D0480026 0002351A
	v_add3_u32 v28, v26, v31, 1                                // 000000009EE4: D1FF001C 02063F1A
	v_cndmask_b32_e64 v20, v28, v30, s[38:39]                  // 000000009EEC: D1000014 009A3D1C
	v_cmp_u_f32_e64 s[38:39], v27, v27                         // 000000009EF4: D0480026 0002371B
	v_add3_u32 v28, v27, v31, 1                                // 000000009EFC: D1FF001C 02063F1B
	v_cndmask_b32_e64 v21, v28, v30, s[38:39]                  // 000000009F04: D1000015 009A3D1C
	v_perm_b32 v25, v21, v20, s52                              // 000000009F0C: D1ED0019 00D22915
	ds_write_b64 v5, v[24:25] offset:3600                      // 000000009F14: D89A0E10 00001805
	s_waitcnt lgkmcnt(4)                                       // 000000009F1C: BF8CC47F
	ds_read_b64 v[40:41], v4                                   // 000000009F20: D8EC0000 28000004
	ds_read_b64 v[44:45], v4 offset:64                         // 000000009F28: D8EC0040 2C000004
	ds_read_b64 v[42:43], v4 offset:1152                       // 000000009F30: D8EC0480 2A000004
	ds_read_b64 v[46:47], v4 offset:1216                       // 000000009F38: D8EC04C0 2E000004
	s_waitcnt lgkmcnt(4)                                       // 000000009F40: BF8CC47F
	ds_read_b64 v[48:49], v4 offset:2304                       // 000000009F44: D8EC0900 30000004
	ds_read_b64 v[52:53], v4 offset:2368                       // 000000009F4C: D8EC0940 34000004
	ds_read_b64 v[50:51], v4 offset:3456                       // 000000009F54: D8EC0D80 32000004
	ds_read_b64 v[54:55], v4 offset:3520                       // 000000009F5C: D8EC0DC0 36000004
	s_waitcnt lgkmcnt(0)                                       // 000000009F64: BF8CC07F
	v_mov_b32_e32 v18, v19                                     // 000000009F68: 7E240313
	buffer_store_dwordx4 v[40:43], v18, s[8:11], 0 offen offset:256// 000000009F6C: E07C1100 80022812
	buffer_store_dwordx4 v[48:51], v18, s[8:11], 0 offen offset:384// 000000009F74: E07C1180 80023012
	v_add_u32_e32 v18, 0x2000, v18                             // 000000009F7C: 682424FF 00002000
	buffer_store_dwordx4 v[44:47], v18, s[8:11], 0 offen offset:256// 000000009F84: E07C1100 80022C12
	buffer_store_dwordx4 v[52:55], v18, s[8:11], 0 offen offset:384// 000000009F8C: E07C1180 80023412
	v_add_u32_e32 v18, 0x2000, v18                             // 000000009F94: 682424FF 00002000
	v_mov_b32_e32 v24, v104                                    // 000000009F9C: 7E300368
	v_mov_b32_e32 v25, v108                                    // 000000009FA0: 7E32036C
	v_mov_b32_e32 v26, v112                                    // 000000009FA4: 7E340370
	v_mov_b32_e32 v27, v116                                    // 000000009FA8: 7E360374
	v_cmp_u_f32_e64 s[38:39], v24, v24                         // 000000009FAC: D0480026 00023118
	v_add3_u32 v28, v24, v31, 1                                // 000000009FB4: D1FF001C 02063F18
	v_cndmask_b32_e64 v20, v28, v30, s[38:39]                  // 000000009FBC: D1000014 009A3D1C
	v_cmp_u_f32_e64 s[38:39], v25, v25                         // 000000009FC4: D0480026 00023319
	v_add3_u32 v28, v25, v31, 1                                // 000000009FCC: D1FF001C 02063F19
	v_cndmask_b32_e64 v21, v28, v30, s[38:39]                  // 000000009FD4: D1000015 009A3D1C
	v_perm_b32 v24, v21, v20, s52                              // 000000009FDC: D1ED0018 00D22915
	v_cmp_u_f32_e64 s[38:39], v26, v26                         // 000000009FE4: D0480026 0002351A
	v_add3_u32 v28, v26, v31, 1                                // 000000009FEC: D1FF001C 02063F1A
	v_cndmask_b32_e64 v20, v28, v30, s[38:39]                  // 000000009FF4: D1000014 009A3D1C
	v_cmp_u_f32_e64 s[38:39], v27, v27                         // 000000009FFC: D0480026 0002371B
	v_add3_u32 v28, v27, v31, 1                                // 00000000A004: D1FF001C 02063F1B
	v_cndmask_b32_e64 v21, v28, v30, s[38:39]                  // 00000000A00C: D1000015 009A3D1C
	v_perm_b32 v25, v21, v20, s52                              // 00000000A014: D1ED0019 00D22915
	ds_write_b64 v5, v[24:25]                                  // 00000000A01C: D89A0000 00001805
	v_mov_b32_e32 v24, v105                                    // 00000000A024: 7E300369
	v_mov_b32_e32 v25, v109                                    // 00000000A028: 7E32036D
	v_mov_b32_e32 v26, v113                                    // 00000000A02C: 7E340371
	v_mov_b32_e32 v27, v117                                    // 00000000A030: 7E360375
	v_cmp_u_f32_e64 s[38:39], v24, v24                         // 00000000A034: D0480026 00023118
	v_add3_u32 v28, v24, v31, 1                                // 00000000A03C: D1FF001C 02063F18
	v_cndmask_b32_e64 v20, v28, v30, s[38:39]                  // 00000000A044: D1000014 009A3D1C
	v_cmp_u_f32_e64 s[38:39], v25, v25                         // 00000000A04C: D0480026 00023319
	v_add3_u32 v28, v25, v31, 1                                // 00000000A054: D1FF001C 02063F19
	v_cndmask_b32_e64 v21, v28, v30, s[38:39]                  // 00000000A05C: D1000015 009A3D1C
	v_perm_b32 v24, v21, v20, s52                              // 00000000A064: D1ED0018 00D22915
	v_cmp_u_f32_e64 s[38:39], v26, v26                         // 00000000A06C: D0480026 0002351A
	v_add3_u32 v28, v26, v31, 1                                // 00000000A074: D1FF001C 02063F1A
	v_cndmask_b32_e64 v20, v28, v30, s[38:39]                  // 00000000A07C: D1000014 009A3D1C
	v_cmp_u_f32_e64 s[38:39], v27, v27                         // 00000000A084: D0480026 0002371B
	v_add3_u32 v28, v27, v31, 1                                // 00000000A08C: D1FF001C 02063F1B
	v_cndmask_b32_e64 v21, v28, v30, s[38:39]                  // 00000000A094: D1000015 009A3D1C
	v_perm_b32 v25, v21, v20, s52                              // 00000000A09C: D1ED0019 00D22915
	ds_write_b64 v5, v[24:25] offset:1152                      // 00000000A0A4: D89A0480 00001805
	v_mov_b32_e32 v24, v106                                    // 00000000A0AC: 7E30036A
	v_mov_b32_e32 v25, v110                                    // 00000000A0B0: 7E32036E
	v_mov_b32_e32 v26, v114                                    // 00000000A0B4: 7E340372
	v_mov_b32_e32 v27, v118                                    // 00000000A0B8: 7E360376
	v_cmp_u_f32_e64 s[38:39], v24, v24                         // 00000000A0BC: D0480026 00023118
	v_add3_u32 v28, v24, v31, 1                                // 00000000A0C4: D1FF001C 02063F18
	v_cndmask_b32_e64 v20, v28, v30, s[38:39]                  // 00000000A0CC: D1000014 009A3D1C
	v_cmp_u_f32_e64 s[38:39], v25, v25                         // 00000000A0D4: D0480026 00023319
	v_add3_u32 v28, v25, v31, 1                                // 00000000A0DC: D1FF001C 02063F19
	v_cndmask_b32_e64 v21, v28, v30, s[38:39]                  // 00000000A0E4: D1000015 009A3D1C
	v_perm_b32 v24, v21, v20, s52                              // 00000000A0EC: D1ED0018 00D22915
	v_cmp_u_f32_e64 s[38:39], v26, v26                         // 00000000A0F4: D0480026 0002351A
	v_add3_u32 v28, v26, v31, 1                                // 00000000A0FC: D1FF001C 02063F1A
	v_cndmask_b32_e64 v20, v28, v30, s[38:39]                  // 00000000A104: D1000014 009A3D1C
	v_cmp_u_f32_e64 s[38:39], v27, v27                         // 00000000A10C: D0480026 0002371B
	v_add3_u32 v28, v27, v31, 1                                // 00000000A114: D1FF001C 02063F1B
	v_cndmask_b32_e64 v21, v28, v30, s[38:39]                  // 00000000A11C: D1000015 009A3D1C
	v_perm_b32 v25, v21, v20, s52                              // 00000000A124: D1ED0019 00D22915
	ds_write_b64 v5, v[24:25] offset:144                       // 00000000A12C: D89A0090 00001805
	v_mov_b32_e32 v24, v107                                    // 00000000A134: 7E30036B
	v_mov_b32_e32 v25, v111                                    // 00000000A138: 7E32036F
	v_mov_b32_e32 v26, v115                                    // 00000000A13C: 7E340373
	v_mov_b32_e32 v27, v119                                    // 00000000A140: 7E360377
	v_cmp_u_f32_e64 s[38:39], v24, v24                         // 00000000A144: D0480026 00023118
	v_add3_u32 v28, v24, v31, 1                                // 00000000A14C: D1FF001C 02063F18
	v_cndmask_b32_e64 v20, v28, v30, s[38:39]                  // 00000000A154: D1000014 009A3D1C
	v_cmp_u_f32_e64 s[38:39], v25, v25                         // 00000000A15C: D0480026 00023319
	v_add3_u32 v28, v25, v31, 1                                // 00000000A164: D1FF001C 02063F19
	v_cndmask_b32_e64 v21, v28, v30, s[38:39]                  // 00000000A16C: D1000015 009A3D1C
	v_perm_b32 v24, v21, v20, s52                              // 00000000A174: D1ED0018 00D22915
	v_cmp_u_f32_e64 s[38:39], v26, v26                         // 00000000A17C: D0480026 0002351A
	v_add3_u32 v28, v26, v31, 1                                // 00000000A184: D1FF001C 02063F1A
	v_cndmask_b32_e64 v20, v28, v30, s[38:39]                  // 00000000A18C: D1000014 009A3D1C
	v_cmp_u_f32_e64 s[38:39], v27, v27                         // 00000000A194: D0480026 0002371B
	v_add3_u32 v28, v27, v31, 1                                // 00000000A19C: D1FF001C 02063F1B
	v_cndmask_b32_e64 v21, v28, v30, s[38:39]                  // 00000000A1A4: D1000015 009A3D1C
	v_perm_b32 v25, v21, v20, s52                              // 00000000A1AC: D1ED0019 00D22915
	ds_write_b64 v5, v[24:25] offset:1296                      // 00000000A1B4: D89A0510 00001805
	v_mov_b32_e32 v24, v120                                    // 00000000A1BC: 7E300378
	v_mov_b32_e32 v25, v124                                    // 00000000A1C0: 7E32037C
	v_mov_b32_e32 v26, v128                                    // 00000000A1C4: 7E340380
	v_mov_b32_e32 v27, v132                                    // 00000000A1C8: 7E360384
	v_cmp_u_f32_e64 s[38:39], v24, v24                         // 00000000A1CC: D0480026 00023118
	v_add3_u32 v28, v24, v31, 1                                // 00000000A1D4: D1FF001C 02063F18
	v_cndmask_b32_e64 v20, v28, v30, s[38:39]                  // 00000000A1DC: D1000014 009A3D1C
	v_cmp_u_f32_e64 s[38:39], v25, v25                         // 00000000A1E4: D0480026 00023319
	v_add3_u32 v28, v25, v31, 1                                // 00000000A1EC: D1FF001C 02063F19
	v_cndmask_b32_e64 v21, v28, v30, s[38:39]                  // 00000000A1F4: D1000015 009A3D1C
	v_perm_b32 v24, v21, v20, s52                              // 00000000A1FC: D1ED0018 00D22915
	v_cmp_u_f32_e64 s[38:39], v26, v26                         // 00000000A204: D0480026 0002351A
	v_add3_u32 v28, v26, v31, 1                                // 00000000A20C: D1FF001C 02063F1A
	v_cndmask_b32_e64 v20, v28, v30, s[38:39]                  // 00000000A214: D1000014 009A3D1C
	v_cmp_u_f32_e64 s[38:39], v27, v27                         // 00000000A21C: D0480026 0002371B
	v_add3_u32 v28, v27, v31, 1                                // 00000000A224: D1FF001C 02063F1B
	v_cndmask_b32_e64 v21, v28, v30, s[38:39]                  // 00000000A22C: D1000015 009A3D1C
	v_perm_b32 v25, v21, v20, s52                              // 00000000A234: D1ED0019 00D22915
	ds_write_b64 v5, v[24:25] offset:2304                      // 00000000A23C: D89A0900 00001805
	v_mov_b32_e32 v24, v121                                    // 00000000A244: 7E300379
	v_mov_b32_e32 v25, v125                                    // 00000000A248: 7E32037D
	v_mov_b32_e32 v26, v129                                    // 00000000A24C: 7E340381
	v_mov_b32_e32 v27, v133                                    // 00000000A250: 7E360385
	v_cmp_u_f32_e64 s[38:39], v24, v24                         // 00000000A254: D0480026 00023118
	v_add3_u32 v28, v24, v31, 1                                // 00000000A25C: D1FF001C 02063F18
	v_cndmask_b32_e64 v20, v28, v30, s[38:39]                  // 00000000A264: D1000014 009A3D1C
	v_cmp_u_f32_e64 s[38:39], v25, v25                         // 00000000A26C: D0480026 00023319
	v_add3_u32 v28, v25, v31, 1                                // 00000000A274: D1FF001C 02063F19
	v_cndmask_b32_e64 v21, v28, v30, s[38:39]                  // 00000000A27C: D1000015 009A3D1C
	v_perm_b32 v24, v21, v20, s52                              // 00000000A284: D1ED0018 00D22915
	v_cmp_u_f32_e64 s[38:39], v26, v26                         // 00000000A28C: D0480026 0002351A
	v_add3_u32 v28, v26, v31, 1                                // 00000000A294: D1FF001C 02063F1A
	v_cndmask_b32_e64 v20, v28, v30, s[38:39]                  // 00000000A29C: D1000014 009A3D1C
	v_cmp_u_f32_e64 s[38:39], v27, v27                         // 00000000A2A4: D0480026 0002371B
	v_add3_u32 v28, v27, v31, 1                                // 00000000A2AC: D1FF001C 02063F1B
	v_cndmask_b32_e64 v21, v28, v30, s[38:39]                  // 00000000A2B4: D1000015 009A3D1C
	v_perm_b32 v25, v21, v20, s52                              // 00000000A2BC: D1ED0019 00D22915
	ds_write_b64 v5, v[24:25] offset:3456                      // 00000000A2C4: D89A0D80 00001805
	v_mov_b32_e32 v24, v122                                    // 00000000A2CC: 7E30037A
	v_mov_b32_e32 v25, v126                                    // 00000000A2D0: 7E32037E
	v_mov_b32_e32 v26, v130                                    // 00000000A2D4: 7E340382
	v_mov_b32_e32 v27, v134                                    // 00000000A2D8: 7E360386
	v_cmp_u_f32_e64 s[38:39], v24, v24                         // 00000000A2DC: D0480026 00023118
	v_add3_u32 v28, v24, v31, 1                                // 00000000A2E4: D1FF001C 02063F18
	v_cndmask_b32_e64 v20, v28, v30, s[38:39]                  // 00000000A2EC: D1000014 009A3D1C
	v_cmp_u_f32_e64 s[38:39], v25, v25                         // 00000000A2F4: D0480026 00023319
	v_add3_u32 v28, v25, v31, 1                                // 00000000A2FC: D1FF001C 02063F19
	v_cndmask_b32_e64 v21, v28, v30, s[38:39]                  // 00000000A304: D1000015 009A3D1C
	v_perm_b32 v24, v21, v20, s52                              // 00000000A30C: D1ED0018 00D22915
	v_cmp_u_f32_e64 s[38:39], v26, v26                         // 00000000A314: D0480026 0002351A
	v_add3_u32 v28, v26, v31, 1                                // 00000000A31C: D1FF001C 02063F1A
	v_cndmask_b32_e64 v20, v28, v30, s[38:39]                  // 00000000A324: D1000014 009A3D1C
	v_cmp_u_f32_e64 s[38:39], v27, v27                         // 00000000A32C: D0480026 0002371B
	v_add3_u32 v28, v27, v31, 1                                // 00000000A334: D1FF001C 02063F1B
	v_cndmask_b32_e64 v21, v28, v30, s[38:39]                  // 00000000A33C: D1000015 009A3D1C
	v_perm_b32 v25, v21, v20, s52                              // 00000000A344: D1ED0019 00D22915
	ds_write_b64 v5, v[24:25] offset:2448                      // 00000000A34C: D89A0990 00001805
	v_mov_b32_e32 v24, v123                                    // 00000000A354: 7E30037B
	v_mov_b32_e32 v25, v127                                    // 00000000A358: 7E32037F
	v_mov_b32_e32 v26, v131                                    // 00000000A35C: 7E340383
	v_mov_b32_e32 v27, v135                                    // 00000000A360: 7E360387
	v_cmp_u_f32_e64 s[38:39], v24, v24                         // 00000000A364: D0480026 00023118
	v_add3_u32 v28, v24, v31, 1                                // 00000000A36C: D1FF001C 02063F18
	v_cndmask_b32_e64 v20, v28, v30, s[38:39]                  // 00000000A374: D1000014 009A3D1C
	v_cmp_u_f32_e64 s[38:39], v25, v25                         // 00000000A37C: D0480026 00023319
	v_add3_u32 v28, v25, v31, 1                                // 00000000A384: D1FF001C 02063F19
	v_cndmask_b32_e64 v21, v28, v30, s[38:39]                  // 00000000A38C: D1000015 009A3D1C
	v_perm_b32 v24, v21, v20, s52                              // 00000000A394: D1ED0018 00D22915
	v_cmp_u_f32_e64 s[38:39], v26, v26                         // 00000000A39C: D0480026 0002351A
	v_add3_u32 v28, v26, v31, 1                                // 00000000A3A4: D1FF001C 02063F1A
	v_cndmask_b32_e64 v20, v28, v30, s[38:39]                  // 00000000A3AC: D1000014 009A3D1C
	v_cmp_u_f32_e64 s[38:39], v27, v27                         // 00000000A3B4: D0480026 0002371B
	v_add3_u32 v28, v27, v31, 1                                // 00000000A3BC: D1FF001C 02063F1B
	v_cndmask_b32_e64 v21, v28, v30, s[38:39]                  // 00000000A3C4: D1000015 009A3D1C
	v_perm_b32 v25, v21, v20, s52                              // 00000000A3CC: D1ED0019 00D22915
	ds_write_b64 v5, v[24:25] offset:3600                      // 00000000A3D4: D89A0E10 00001805
	s_waitcnt lgkmcnt(4)                                       // 00000000A3DC: BF8CC47F
	ds_read_b64 v[40:41], v4                                   // 00000000A3E0: D8EC0000 28000004
	ds_read_b64 v[44:45], v4 offset:64                         // 00000000A3E8: D8EC0040 2C000004
	ds_read_b64 v[42:43], v4 offset:1152                       // 00000000A3F0: D8EC0480 2A000004
	ds_read_b64 v[46:47], v4 offset:1216                       // 00000000A3F8: D8EC04C0 2E000004
	s_waitcnt lgkmcnt(4)                                       // 00000000A400: BF8CC47F
	ds_read_b64 v[48:49], v4 offset:2304                       // 00000000A404: D8EC0900 30000004
	ds_read_b64 v[52:53], v4 offset:2368                       // 00000000A40C: D8EC0940 34000004
	ds_read_b64 v[50:51], v4 offset:3456                       // 00000000A414: D8EC0D80 32000004
	ds_read_b64 v[54:55], v4 offset:3520                       // 00000000A41C: D8EC0DC0 36000004
	s_waitcnt lgkmcnt(0)                                       // 00000000A424: BF8CC07F
	v_mov_b32_e32 v18, v19                                     // 00000000A428: 7E240313
	buffer_store_dwordx4 v[40:43], v18, s[8:11], 0 offen offset:512// 00000000A42C: E07C1200 80022812
	buffer_store_dwordx4 v[48:51], v18, s[8:11], 0 offen offset:640// 00000000A434: E07C1280 80023012
	v_add_u32_e32 v18, 0x2000, v18                             // 00000000A43C: 682424FF 00002000
	buffer_store_dwordx4 v[44:47], v18, s[8:11], 0 offen offset:512// 00000000A444: E07C1200 80022C12
	buffer_store_dwordx4 v[52:55], v18, s[8:11], 0 offen offset:640// 00000000A44C: E07C1280 80023412
	v_add_u32_e32 v18, 0x2000, v18                             // 00000000A454: 682424FF 00002000
	v_mov_b32_e32 v24, v136                                    // 00000000A45C: 7E300388
	v_mov_b32_e32 v25, v140                                    // 00000000A460: 7E32038C
	v_mov_b32_e32 v26, v144                                    // 00000000A464: 7E340390
	v_accvgpr_read_b32 v27, a216                               // 00000000A468: D3D8401B 180001D8
	v_cmp_u_f32_e64 s[38:39], v24, v24                         // 00000000A470: D0480026 00023118
	v_add3_u32 v28, v24, v31, 1                                // 00000000A478: D1FF001C 02063F18
	v_cndmask_b32_e64 v20, v28, v30, s[38:39]                  // 00000000A480: D1000014 009A3D1C
	v_cmp_u_f32_e64 s[38:39], v25, v25                         // 00000000A488: D0480026 00023319
	v_add3_u32 v28, v25, v31, 1                                // 00000000A490: D1FF001C 02063F19
	v_cndmask_b32_e64 v21, v28, v30, s[38:39]                  // 00000000A498: D1000015 009A3D1C
	v_perm_b32 v24, v21, v20, s52                              // 00000000A4A0: D1ED0018 00D22915
	v_cmp_u_f32_e64 s[38:39], v26, v26                         // 00000000A4A8: D0480026 0002351A
	v_add3_u32 v28, v26, v31, 1                                // 00000000A4B0: D1FF001C 02063F1A
	v_cndmask_b32_e64 v20, v28, v30, s[38:39]                  // 00000000A4B8: D1000014 009A3D1C
	v_cmp_u_f32_e64 s[38:39], v27, v27                         // 00000000A4C0: D0480026 0002371B
	v_add3_u32 v28, v27, v31, 1                                // 00000000A4C8: D1FF001C 02063F1B
	v_cndmask_b32_e64 v21, v28, v30, s[38:39]                  // 00000000A4D0: D1000015 009A3D1C
	v_perm_b32 v25, v21, v20, s52                              // 00000000A4D8: D1ED0019 00D22915
	ds_write_b64 v5, v[24:25]                                  // 00000000A4E0: D89A0000 00001805
	v_mov_b32_e32 v24, v137                                    // 00000000A4E8: 7E300389
	v_mov_b32_e32 v25, v141                                    // 00000000A4EC: 7E32038D
	v_mov_b32_e32 v26, v145                                    // 00000000A4F0: 7E340391
	v_accvgpr_read_b32 v27, a217                               // 00000000A4F4: D3D8401B 180001D9
	v_cmp_u_f32_e64 s[38:39], v24, v24                         // 00000000A4FC: D0480026 00023118
	v_add3_u32 v28, v24, v31, 1                                // 00000000A504: D1FF001C 02063F18
	v_cndmask_b32_e64 v20, v28, v30, s[38:39]                  // 00000000A50C: D1000014 009A3D1C
	v_cmp_u_f32_e64 s[38:39], v25, v25                         // 00000000A514: D0480026 00023319
	v_add3_u32 v28, v25, v31, 1                                // 00000000A51C: D1FF001C 02063F19
	v_cndmask_b32_e64 v21, v28, v30, s[38:39]                  // 00000000A524: D1000015 009A3D1C
	v_perm_b32 v24, v21, v20, s52                              // 00000000A52C: D1ED0018 00D22915
	v_cmp_u_f32_e64 s[38:39], v26, v26                         // 00000000A534: D0480026 0002351A
	v_add3_u32 v28, v26, v31, 1                                // 00000000A53C: D1FF001C 02063F1A
	v_cndmask_b32_e64 v20, v28, v30, s[38:39]                  // 00000000A544: D1000014 009A3D1C
	v_cmp_u_f32_e64 s[38:39], v27, v27                         // 00000000A54C: D0480026 0002371B
	v_add3_u32 v28, v27, v31, 1                                // 00000000A554: D1FF001C 02063F1B
	v_cndmask_b32_e64 v21, v28, v30, s[38:39]                  // 00000000A55C: D1000015 009A3D1C
	v_perm_b32 v25, v21, v20, s52                              // 00000000A564: D1ED0019 00D22915
	ds_write_b64 v5, v[24:25] offset:1152                      // 00000000A56C: D89A0480 00001805
	v_mov_b32_e32 v24, v138                                    // 00000000A574: 7E30038A
	v_mov_b32_e32 v25, v142                                    // 00000000A578: 7E32038E
	v_mov_b32_e32 v26, v146                                    // 00000000A57C: 7E340392
	v_accvgpr_read_b32 v27, a218                               // 00000000A580: D3D8401B 180001DA
	v_cmp_u_f32_e64 s[38:39], v24, v24                         // 00000000A588: D0480026 00023118
	v_add3_u32 v28, v24, v31, 1                                // 00000000A590: D1FF001C 02063F18
	v_cndmask_b32_e64 v20, v28, v30, s[38:39]                  // 00000000A598: D1000014 009A3D1C
	v_cmp_u_f32_e64 s[38:39], v25, v25                         // 00000000A5A0: D0480026 00023319
	v_add3_u32 v28, v25, v31, 1                                // 00000000A5A8: D1FF001C 02063F19
	v_cndmask_b32_e64 v21, v28, v30, s[38:39]                  // 00000000A5B0: D1000015 009A3D1C
	v_perm_b32 v24, v21, v20, s52                              // 00000000A5B8: D1ED0018 00D22915
	v_cmp_u_f32_e64 s[38:39], v26, v26                         // 00000000A5C0: D0480026 0002351A
	v_add3_u32 v28, v26, v31, 1                                // 00000000A5C8: D1FF001C 02063F1A
	v_cndmask_b32_e64 v20, v28, v30, s[38:39]                  // 00000000A5D0: D1000014 009A3D1C
	v_cmp_u_f32_e64 s[38:39], v27, v27                         // 00000000A5D8: D0480026 0002371B
	v_add3_u32 v28, v27, v31, 1                                // 00000000A5E0: D1FF001C 02063F1B
	v_cndmask_b32_e64 v21, v28, v30, s[38:39]                  // 00000000A5E8: D1000015 009A3D1C
	v_perm_b32 v25, v21, v20, s52                              // 00000000A5F0: D1ED0019 00D22915
	ds_write_b64 v5, v[24:25] offset:144                       // 00000000A5F8: D89A0090 00001805
	v_mov_b32_e32 v24, v139                                    // 00000000A600: 7E30038B
	v_mov_b32_e32 v25, v143                                    // 00000000A604: 7E32038F
	v_mov_b32_e32 v26, v147                                    // 00000000A608: 7E340393
	v_accvgpr_read_b32 v27, a219                               // 00000000A60C: D3D8401B 180001DB
	v_cmp_u_f32_e64 s[38:39], v24, v24                         // 00000000A614: D0480026 00023118
	v_add3_u32 v28, v24, v31, 1                                // 00000000A61C: D1FF001C 02063F18
	v_cndmask_b32_e64 v20, v28, v30, s[38:39]                  // 00000000A624: D1000014 009A3D1C
	v_cmp_u_f32_e64 s[38:39], v25, v25                         // 00000000A62C: D0480026 00023319
	v_add3_u32 v28, v25, v31, 1                                // 00000000A634: D1FF001C 02063F19
	v_cndmask_b32_e64 v21, v28, v30, s[38:39]                  // 00000000A63C: D1000015 009A3D1C
	v_perm_b32 v24, v21, v20, s52                              // 00000000A644: D1ED0018 00D22915
	v_cmp_u_f32_e64 s[38:39], v26, v26                         // 00000000A64C: D0480026 0002351A
	v_add3_u32 v28, v26, v31, 1                                // 00000000A654: D1FF001C 02063F1A
	v_cndmask_b32_e64 v20, v28, v30, s[38:39]                  // 00000000A65C: D1000014 009A3D1C
	v_cmp_u_f32_e64 s[38:39], v27, v27                         // 00000000A664: D0480026 0002371B
	v_add3_u32 v28, v27, v31, 1                                // 00000000A66C: D1FF001C 02063F1B
	v_cndmask_b32_e64 v21, v28, v30, s[38:39]                  // 00000000A674: D1000015 009A3D1C
	v_perm_b32 v25, v21, v20, s52                              // 00000000A67C: D1ED0019 00D22915
	ds_write_b64 v5, v[24:25] offset:1296                      // 00000000A684: D89A0510 00001805
	v_accvgpr_read_b32 v24, a220                               // 00000000A68C: D3D84018 180001DC
	v_accvgpr_read_b32 v25, a224                               // 00000000A694: D3D84019 180001E0
	v_accvgpr_read_b32 v26, a228                               // 00000000A69C: D3D8401A 180001E4
	v_accvgpr_read_b32 v27, a232                               // 00000000A6A4: D3D8401B 180001E8
	v_cmp_u_f32_e64 s[38:39], v24, v24                         // 00000000A6AC: D0480026 00023118
	v_add3_u32 v28, v24, v31, 1                                // 00000000A6B4: D1FF001C 02063F18
	v_cndmask_b32_e64 v20, v28, v30, s[38:39]                  // 00000000A6BC: D1000014 009A3D1C
	v_cmp_u_f32_e64 s[38:39], v25, v25                         // 00000000A6C4: D0480026 00023319
	v_add3_u32 v28, v25, v31, 1                                // 00000000A6CC: D1FF001C 02063F19
	v_cndmask_b32_e64 v21, v28, v30, s[38:39]                  // 00000000A6D4: D1000015 009A3D1C
	v_perm_b32 v24, v21, v20, s52                              // 00000000A6DC: D1ED0018 00D22915
	v_cmp_u_f32_e64 s[38:39], v26, v26                         // 00000000A6E4: D0480026 0002351A
	v_add3_u32 v28, v26, v31, 1                                // 00000000A6EC: D1FF001C 02063F1A
	v_cndmask_b32_e64 v20, v28, v30, s[38:39]                  // 00000000A6F4: D1000014 009A3D1C
	v_cmp_u_f32_e64 s[38:39], v27, v27                         // 00000000A6FC: D0480026 0002371B
	v_add3_u32 v28, v27, v31, 1                                // 00000000A704: D1FF001C 02063F1B
	v_cndmask_b32_e64 v21, v28, v30, s[38:39]                  // 00000000A70C: D1000015 009A3D1C
	v_perm_b32 v25, v21, v20, s52                              // 00000000A714: D1ED0019 00D22915
	ds_write_b64 v5, v[24:25] offset:2304                      // 00000000A71C: D89A0900 00001805
	v_accvgpr_read_b32 v24, a221                               // 00000000A724: D3D84018 180001DD
	v_accvgpr_read_b32 v25, a225                               // 00000000A72C: D3D84019 180001E1
	v_accvgpr_read_b32 v26, a229                               // 00000000A734: D3D8401A 180001E5
	v_accvgpr_read_b32 v27, a233                               // 00000000A73C: D3D8401B 180001E9
	v_cmp_u_f32_e64 s[38:39], v24, v24                         // 00000000A744: D0480026 00023118
	v_add3_u32 v28, v24, v31, 1                                // 00000000A74C: D1FF001C 02063F18
	v_cndmask_b32_e64 v20, v28, v30, s[38:39]                  // 00000000A754: D1000014 009A3D1C
	v_cmp_u_f32_e64 s[38:39], v25, v25                         // 00000000A75C: D0480026 00023319
	v_add3_u32 v28, v25, v31, 1                                // 00000000A764: D1FF001C 02063F19
	v_cndmask_b32_e64 v21, v28, v30, s[38:39]                  // 00000000A76C: D1000015 009A3D1C
	v_perm_b32 v24, v21, v20, s52                              // 00000000A774: D1ED0018 00D22915
	v_cmp_u_f32_e64 s[38:39], v26, v26                         // 00000000A77C: D0480026 0002351A
	v_add3_u32 v28, v26, v31, 1                                // 00000000A784: D1FF001C 02063F1A
	v_cndmask_b32_e64 v20, v28, v30, s[38:39]                  // 00000000A78C: D1000014 009A3D1C
	v_cmp_u_f32_e64 s[38:39], v27, v27                         // 00000000A794: D0480026 0002371B
	v_add3_u32 v28, v27, v31, 1                                // 00000000A79C: D1FF001C 02063F1B
	v_cndmask_b32_e64 v21, v28, v30, s[38:39]                  // 00000000A7A4: D1000015 009A3D1C
	v_perm_b32 v25, v21, v20, s52                              // 00000000A7AC: D1ED0019 00D22915
	ds_write_b64 v5, v[24:25] offset:3456                      // 00000000A7B4: D89A0D80 00001805
	v_accvgpr_read_b32 v24, a222                               // 00000000A7BC: D3D84018 180001DE
	v_accvgpr_read_b32 v25, a226                               // 00000000A7C4: D3D84019 180001E2
	v_accvgpr_read_b32 v26, a230                               // 00000000A7CC: D3D8401A 180001E6
	v_accvgpr_read_b32 v27, a234                               // 00000000A7D4: D3D8401B 180001EA
	v_cmp_u_f32_e64 s[38:39], v24, v24                         // 00000000A7DC: D0480026 00023118
	v_add3_u32 v28, v24, v31, 1                                // 00000000A7E4: D1FF001C 02063F18
	v_cndmask_b32_e64 v20, v28, v30, s[38:39]                  // 00000000A7EC: D1000014 009A3D1C
	v_cmp_u_f32_e64 s[38:39], v25, v25                         // 00000000A7F4: D0480026 00023319
	v_add3_u32 v28, v25, v31, 1                                // 00000000A7FC: D1FF001C 02063F19
	v_cndmask_b32_e64 v21, v28, v30, s[38:39]                  // 00000000A804: D1000015 009A3D1C
	v_perm_b32 v24, v21, v20, s52                              // 00000000A80C: D1ED0018 00D22915
	v_cmp_u_f32_e64 s[38:39], v26, v26                         // 00000000A814: D0480026 0002351A
	v_add3_u32 v28, v26, v31, 1                                // 00000000A81C: D1FF001C 02063F1A
	v_cndmask_b32_e64 v20, v28, v30, s[38:39]                  // 00000000A824: D1000014 009A3D1C
	v_cmp_u_f32_e64 s[38:39], v27, v27                         // 00000000A82C: D0480026 0002371B
	v_add3_u32 v28, v27, v31, 1                                // 00000000A834: D1FF001C 02063F1B
	v_cndmask_b32_e64 v21, v28, v30, s[38:39]                  // 00000000A83C: D1000015 009A3D1C
	v_perm_b32 v25, v21, v20, s52                              // 00000000A844: D1ED0019 00D22915
	ds_write_b64 v5, v[24:25] offset:2448                      // 00000000A84C: D89A0990 00001805
	v_accvgpr_read_b32 v24, a223                               // 00000000A854: D3D84018 180001DF
	v_accvgpr_read_b32 v25, a227                               // 00000000A85C: D3D84019 180001E3
	v_accvgpr_read_b32 v26, a231                               // 00000000A864: D3D8401A 180001E7
	v_accvgpr_read_b32 v27, a235                               // 00000000A86C: D3D8401B 180001EB
	v_cmp_u_f32_e64 s[38:39], v24, v24                         // 00000000A874: D0480026 00023118
	v_add3_u32 v28, v24, v31, 1                                // 00000000A87C: D1FF001C 02063F18
	v_cndmask_b32_e64 v20, v28, v30, s[38:39]                  // 00000000A884: D1000014 009A3D1C
	v_cmp_u_f32_e64 s[38:39], v25, v25                         // 00000000A88C: D0480026 00023319
	v_add3_u32 v28, v25, v31, 1                                // 00000000A894: D1FF001C 02063F19
	v_cndmask_b32_e64 v21, v28, v30, s[38:39]                  // 00000000A89C: D1000015 009A3D1C
	v_perm_b32 v24, v21, v20, s52                              // 00000000A8A4: D1ED0018 00D22915
	v_cmp_u_f32_e64 s[38:39], v26, v26                         // 00000000A8AC: D0480026 0002351A
	v_add3_u32 v28, v26, v31, 1                                // 00000000A8B4: D1FF001C 02063F1A
	v_cndmask_b32_e64 v20, v28, v30, s[38:39]                  // 00000000A8BC: D1000014 009A3D1C
	v_cmp_u_f32_e64 s[38:39], v27, v27                         // 00000000A8C4: D0480026 0002371B
	v_add3_u32 v28, v27, v31, 1                                // 00000000A8CC: D1FF001C 02063F1B
	v_cndmask_b32_e64 v21, v28, v30, s[38:39]                  // 00000000A8D4: D1000015 009A3D1C
	v_perm_b32 v25, v21, v20, s52                              // 00000000A8DC: D1ED0019 00D22915
	ds_write_b64 v5, v[24:25] offset:3600                      // 00000000A8E4: D89A0E10 00001805
	s_waitcnt lgkmcnt(4)                                       // 00000000A8EC: BF8CC47F
	ds_read_b64 v[40:41], v4                                   // 00000000A8F0: D8EC0000 28000004
	ds_read_b64 v[44:45], v4 offset:64                         // 00000000A8F8: D8EC0040 2C000004
	ds_read_b64 v[42:43], v4 offset:1152                       // 00000000A900: D8EC0480 2A000004
	ds_read_b64 v[46:47], v4 offset:1216                       // 00000000A908: D8EC04C0 2E000004
	s_waitcnt lgkmcnt(4)                                       // 00000000A910: BF8CC47F
	ds_read_b64 v[48:49], v4 offset:2304                       // 00000000A914: D8EC0900 30000004
	ds_read_b64 v[52:53], v4 offset:2368                       // 00000000A91C: D8EC0940 34000004
	ds_read_b64 v[50:51], v4 offset:3456                       // 00000000A924: D8EC0D80 32000004
	ds_read_b64 v[54:55], v4 offset:3520                       // 00000000A92C: D8EC0DC0 36000004
	s_waitcnt lgkmcnt(0)                                       // 00000000A934: BF8CC07F
	v_mov_b32_e32 v18, v19                                     // 00000000A938: 7E240313
	buffer_store_dwordx4 v[40:43], v18, s[8:11], 0 offen offset:768// 00000000A93C: E07C1300 80022812
	buffer_store_dwordx4 v[48:51], v18, s[8:11], 0 offen offset:896// 00000000A944: E07C1380 80023012
	v_add_u32_e32 v18, 0x2000, v18                             // 00000000A94C: 682424FF 00002000
	buffer_store_dwordx4 v[44:47], v18, s[8:11], 0 offen offset:768// 00000000A954: E07C1300 80022C12
	buffer_store_dwordx4 v[52:55], v18, s[8:11], 0 offen offset:896// 00000000A95C: E07C1380 80023412
	v_add_u32_e32 v18, 0x2000, v18                             // 00000000A964: 682424FF 00002000
	s_mov_b32 s56, 0x10000                                     // 00000000A96C: BEB800FF 00010000
	v_add_u32_e64 v19, v19, s56                                // 00000000A974: D1340013 00007113
	v_mov_b32_e32 v24, v148                                    // 00000000A97C: 7E300394
	v_mov_b32_e32 v25, v152                                    // 00000000A980: 7E320398
	v_mov_b32_e32 v26, v156                                    // 00000000A984: 7E34039C
	v_mov_b32_e32 v27, v160                                    // 00000000A988: 7E3603A0
	v_cmp_u_f32_e64 s[38:39], v24, v24                         // 00000000A98C: D0480026 00023118
	v_add3_u32 v28, v24, v31, 1                                // 00000000A994: D1FF001C 02063F18
	v_cndmask_b32_e64 v20, v28, v30, s[38:39]                  // 00000000A99C: D1000014 009A3D1C
	v_cmp_u_f32_e64 s[38:39], v25, v25                         // 00000000A9A4: D0480026 00023319
	v_add3_u32 v28, v25, v31, 1                                // 00000000A9AC: D1FF001C 02063F19
	v_cndmask_b32_e64 v21, v28, v30, s[38:39]                  // 00000000A9B4: D1000015 009A3D1C
	v_perm_b32 v24, v21, v20, s52                              // 00000000A9BC: D1ED0018 00D22915
	v_cmp_u_f32_e64 s[38:39], v26, v26                         // 00000000A9C4: D0480026 0002351A
	v_add3_u32 v28, v26, v31, 1                                // 00000000A9CC: D1FF001C 02063F1A
	v_cndmask_b32_e64 v20, v28, v30, s[38:39]                  // 00000000A9D4: D1000014 009A3D1C
	v_cmp_u_f32_e64 s[38:39], v27, v27                         // 00000000A9DC: D0480026 0002371B
	v_add3_u32 v28, v27, v31, 1                                // 00000000A9E4: D1FF001C 02063F1B
	v_cndmask_b32_e64 v21, v28, v30, s[38:39]                  // 00000000A9EC: D1000015 009A3D1C
	v_perm_b32 v25, v21, v20, s52                              // 00000000A9F4: D1ED0019 00D22915
	ds_write_b64 v5, v[24:25]                                  // 00000000A9FC: D89A0000 00001805
	v_mov_b32_e32 v24, v149                                    // 00000000AA04: 7E300395
	v_mov_b32_e32 v25, v153                                    // 00000000AA08: 7E320399
	v_mov_b32_e32 v26, v157                                    // 00000000AA0C: 7E34039D
	v_mov_b32_e32 v27, v161                                    // 00000000AA10: 7E3603A1
	v_cmp_u_f32_e64 s[38:39], v24, v24                         // 00000000AA14: D0480026 00023118
	v_add3_u32 v28, v24, v31, 1                                // 00000000AA1C: D1FF001C 02063F18
	v_cndmask_b32_e64 v20, v28, v30, s[38:39]                  // 00000000AA24: D1000014 009A3D1C
	v_cmp_u_f32_e64 s[38:39], v25, v25                         // 00000000AA2C: D0480026 00023319
	v_add3_u32 v28, v25, v31, 1                                // 00000000AA34: D1FF001C 02063F19
	v_cndmask_b32_e64 v21, v28, v30, s[38:39]                  // 00000000AA3C: D1000015 009A3D1C
	v_perm_b32 v24, v21, v20, s52                              // 00000000AA44: D1ED0018 00D22915
	v_cmp_u_f32_e64 s[38:39], v26, v26                         // 00000000AA4C: D0480026 0002351A
	v_add3_u32 v28, v26, v31, 1                                // 00000000AA54: D1FF001C 02063F1A
	v_cndmask_b32_e64 v20, v28, v30, s[38:39]                  // 00000000AA5C: D1000014 009A3D1C
	v_cmp_u_f32_e64 s[38:39], v27, v27                         // 00000000AA64: D0480026 0002371B
	v_add3_u32 v28, v27, v31, 1                                // 00000000AA6C: D1FF001C 02063F1B
	v_cndmask_b32_e64 v21, v28, v30, s[38:39]                  // 00000000AA74: D1000015 009A3D1C
	v_perm_b32 v25, v21, v20, s52                              // 00000000AA7C: D1ED0019 00D22915
	ds_write_b64 v5, v[24:25] offset:1152                      // 00000000AA84: D89A0480 00001805
	v_mov_b32_e32 v24, v150                                    // 00000000AA8C: 7E300396
	v_mov_b32_e32 v25, v154                                    // 00000000AA90: 7E32039A
	v_mov_b32_e32 v26, v158                                    // 00000000AA94: 7E34039E
	v_mov_b32_e32 v27, v162                                    // 00000000AA98: 7E3603A2
	v_cmp_u_f32_e64 s[38:39], v24, v24                         // 00000000AA9C: D0480026 00023118
	v_add3_u32 v28, v24, v31, 1                                // 00000000AAA4: D1FF001C 02063F18
	v_cndmask_b32_e64 v20, v28, v30, s[38:39]                  // 00000000AAAC: D1000014 009A3D1C
	v_cmp_u_f32_e64 s[38:39], v25, v25                         // 00000000AAB4: D0480026 00023319
	v_add3_u32 v28, v25, v31, 1                                // 00000000AABC: D1FF001C 02063F19
	v_cndmask_b32_e64 v21, v28, v30, s[38:39]                  // 00000000AAC4: D1000015 009A3D1C
	v_perm_b32 v24, v21, v20, s52                              // 00000000AACC: D1ED0018 00D22915
	v_cmp_u_f32_e64 s[38:39], v26, v26                         // 00000000AAD4: D0480026 0002351A
	v_add3_u32 v28, v26, v31, 1                                // 00000000AADC: D1FF001C 02063F1A
	v_cndmask_b32_e64 v20, v28, v30, s[38:39]                  // 00000000AAE4: D1000014 009A3D1C
	v_cmp_u_f32_e64 s[38:39], v27, v27                         // 00000000AAEC: D0480026 0002371B
	v_add3_u32 v28, v27, v31, 1                                // 00000000AAF4: D1FF001C 02063F1B
	v_cndmask_b32_e64 v21, v28, v30, s[38:39]                  // 00000000AAFC: D1000015 009A3D1C
	v_perm_b32 v25, v21, v20, s52                              // 00000000AB04: D1ED0019 00D22915
	ds_write_b64 v5, v[24:25] offset:144                       // 00000000AB0C: D89A0090 00001805
	v_mov_b32_e32 v24, v151                                    // 00000000AB14: 7E300397
	v_mov_b32_e32 v25, v155                                    // 00000000AB18: 7E32039B
	v_mov_b32_e32 v26, v159                                    // 00000000AB1C: 7E34039F
	v_mov_b32_e32 v27, v163                                    // 00000000AB20: 7E3603A3
	v_cmp_u_f32_e64 s[38:39], v24, v24                         // 00000000AB24: D0480026 00023118
	v_add3_u32 v28, v24, v31, 1                                // 00000000AB2C: D1FF001C 02063F18
	v_cndmask_b32_e64 v20, v28, v30, s[38:39]                  // 00000000AB34: D1000014 009A3D1C
	v_cmp_u_f32_e64 s[38:39], v25, v25                         // 00000000AB3C: D0480026 00023319
	v_add3_u32 v28, v25, v31, 1                                // 00000000AB44: D1FF001C 02063F19
	v_cndmask_b32_e64 v21, v28, v30, s[38:39]                  // 00000000AB4C: D1000015 009A3D1C
	v_perm_b32 v24, v21, v20, s52                              // 00000000AB54: D1ED0018 00D22915
	v_cmp_u_f32_e64 s[38:39], v26, v26                         // 00000000AB5C: D0480026 0002351A
	v_add3_u32 v28, v26, v31, 1                                // 00000000AB64: D1FF001C 02063F1A
	v_cndmask_b32_e64 v20, v28, v30, s[38:39]                  // 00000000AB6C: D1000014 009A3D1C
	v_cmp_u_f32_e64 s[38:39], v27, v27                         // 00000000AB74: D0480026 0002371B
	v_add3_u32 v28, v27, v31, 1                                // 00000000AB7C: D1FF001C 02063F1B
	v_cndmask_b32_e64 v21, v28, v30, s[38:39]                  // 00000000AB84: D1000015 009A3D1C
	v_perm_b32 v25, v21, v20, s52                              // 00000000AB8C: D1ED0019 00D22915
	ds_write_b64 v5, v[24:25] offset:1296                      // 00000000AB94: D89A0510 00001805
	v_mov_b32_e32 v24, v164                                    // 00000000AB9C: 7E3003A4
	v_mov_b32_e32 v25, v168                                    // 00000000ABA0: 7E3203A8
	v_mov_b32_e32 v26, v172                                    // 00000000ABA4: 7E3403AC
	v_mov_b32_e32 v27, v176                                    // 00000000ABA8: 7E3603B0
	v_cmp_u_f32_e64 s[38:39], v24, v24                         // 00000000ABAC: D0480026 00023118
	v_add3_u32 v28, v24, v31, 1                                // 00000000ABB4: D1FF001C 02063F18
	v_cndmask_b32_e64 v20, v28, v30, s[38:39]                  // 00000000ABBC: D1000014 009A3D1C
	v_cmp_u_f32_e64 s[38:39], v25, v25                         // 00000000ABC4: D0480026 00023319
	v_add3_u32 v28, v25, v31, 1                                // 00000000ABCC: D1FF001C 02063F19
	v_cndmask_b32_e64 v21, v28, v30, s[38:39]                  // 00000000ABD4: D1000015 009A3D1C
	v_perm_b32 v24, v21, v20, s52                              // 00000000ABDC: D1ED0018 00D22915
	v_cmp_u_f32_e64 s[38:39], v26, v26                         // 00000000ABE4: D0480026 0002351A
	v_add3_u32 v28, v26, v31, 1                                // 00000000ABEC: D1FF001C 02063F1A
	v_cndmask_b32_e64 v20, v28, v30, s[38:39]                  // 00000000ABF4: D1000014 009A3D1C
	v_cmp_u_f32_e64 s[38:39], v27, v27                         // 00000000ABFC: D0480026 0002371B
	v_add3_u32 v28, v27, v31, 1                                // 00000000AC04: D1FF001C 02063F1B
	v_cndmask_b32_e64 v21, v28, v30, s[38:39]                  // 00000000AC0C: D1000015 009A3D1C
	v_perm_b32 v25, v21, v20, s52                              // 00000000AC14: D1ED0019 00D22915
	ds_write_b64 v5, v[24:25] offset:2304                      // 00000000AC1C: D89A0900 00001805
	v_mov_b32_e32 v24, v165                                    // 00000000AC24: 7E3003A5
	v_mov_b32_e32 v25, v169                                    // 00000000AC28: 7E3203A9
	v_mov_b32_e32 v26, v173                                    // 00000000AC2C: 7E3403AD
	v_mov_b32_e32 v27, v177                                    // 00000000AC30: 7E3603B1
	v_cmp_u_f32_e64 s[38:39], v24, v24                         // 00000000AC34: D0480026 00023118
	v_add3_u32 v28, v24, v31, 1                                // 00000000AC3C: D1FF001C 02063F18
	v_cndmask_b32_e64 v20, v28, v30, s[38:39]                  // 00000000AC44: D1000014 009A3D1C
	v_cmp_u_f32_e64 s[38:39], v25, v25                         // 00000000AC4C: D0480026 00023319
	v_add3_u32 v28, v25, v31, 1                                // 00000000AC54: D1FF001C 02063F19
	v_cndmask_b32_e64 v21, v28, v30, s[38:39]                  // 00000000AC5C: D1000015 009A3D1C
	v_perm_b32 v24, v21, v20, s52                              // 00000000AC64: D1ED0018 00D22915
	v_cmp_u_f32_e64 s[38:39], v26, v26                         // 00000000AC6C: D0480026 0002351A
	v_add3_u32 v28, v26, v31, 1                                // 00000000AC74: D1FF001C 02063F1A
	v_cndmask_b32_e64 v20, v28, v30, s[38:39]                  // 00000000AC7C: D1000014 009A3D1C
	v_cmp_u_f32_e64 s[38:39], v27, v27                         // 00000000AC84: D0480026 0002371B
	v_add3_u32 v28, v27, v31, 1                                // 00000000AC8C: D1FF001C 02063F1B
	v_cndmask_b32_e64 v21, v28, v30, s[38:39]                  // 00000000AC94: D1000015 009A3D1C
	v_perm_b32 v25, v21, v20, s52                              // 00000000AC9C: D1ED0019 00D22915
	ds_write_b64 v5, v[24:25] offset:3456                      // 00000000ACA4: D89A0D80 00001805
	v_mov_b32_e32 v24, v166                                    // 00000000ACAC: 7E3003A6
	v_mov_b32_e32 v25, v170                                    // 00000000ACB0: 7E3203AA
	v_mov_b32_e32 v26, v174                                    // 00000000ACB4: 7E3403AE
	v_mov_b32_e32 v27, v178                                    // 00000000ACB8: 7E3603B2
	v_cmp_u_f32_e64 s[38:39], v24, v24                         // 00000000ACBC: D0480026 00023118
	v_add3_u32 v28, v24, v31, 1                                // 00000000ACC4: D1FF001C 02063F18
	v_cndmask_b32_e64 v20, v28, v30, s[38:39]                  // 00000000ACCC: D1000014 009A3D1C
	v_cmp_u_f32_e64 s[38:39], v25, v25                         // 00000000ACD4: D0480026 00023319
	v_add3_u32 v28, v25, v31, 1                                // 00000000ACDC: D1FF001C 02063F19
	v_cndmask_b32_e64 v21, v28, v30, s[38:39]                  // 00000000ACE4: D1000015 009A3D1C
	v_perm_b32 v24, v21, v20, s52                              // 00000000ACEC: D1ED0018 00D22915
	v_cmp_u_f32_e64 s[38:39], v26, v26                         // 00000000ACF4: D0480026 0002351A
	v_add3_u32 v28, v26, v31, 1                                // 00000000ACFC: D1FF001C 02063F1A
	v_cndmask_b32_e64 v20, v28, v30, s[38:39]                  // 00000000AD04: D1000014 009A3D1C
	v_cmp_u_f32_e64 s[38:39], v27, v27                         // 00000000AD0C: D0480026 0002371B
	v_add3_u32 v28, v27, v31, 1                                // 00000000AD14: D1FF001C 02063F1B
	v_cndmask_b32_e64 v21, v28, v30, s[38:39]                  // 00000000AD1C: D1000015 009A3D1C
	v_perm_b32 v25, v21, v20, s52                              // 00000000AD24: D1ED0019 00D22915
	ds_write_b64 v5, v[24:25] offset:2448                      // 00000000AD2C: D89A0990 00001805
	v_mov_b32_e32 v24, v167                                    // 00000000AD34: 7E3003A7
	v_mov_b32_e32 v25, v171                                    // 00000000AD38: 7E3203AB
	v_mov_b32_e32 v26, v175                                    // 00000000AD3C: 7E3403AF
	v_mov_b32_e32 v27, v179                                    // 00000000AD40: 7E3603B3
	v_cmp_u_f32_e64 s[38:39], v24, v24                         // 00000000AD44: D0480026 00023118
	v_add3_u32 v28, v24, v31, 1                                // 00000000AD4C: D1FF001C 02063F18
	v_cndmask_b32_e64 v20, v28, v30, s[38:39]                  // 00000000AD54: D1000014 009A3D1C
	v_cmp_u_f32_e64 s[38:39], v25, v25                         // 00000000AD5C: D0480026 00023319
	v_add3_u32 v28, v25, v31, 1                                // 00000000AD64: D1FF001C 02063F19
	v_cndmask_b32_e64 v21, v28, v30, s[38:39]                  // 00000000AD6C: D1000015 009A3D1C
	v_perm_b32 v24, v21, v20, s52                              // 00000000AD74: D1ED0018 00D22915
	v_cmp_u_f32_e64 s[38:39], v26, v26                         // 00000000AD7C: D0480026 0002351A
	v_add3_u32 v28, v26, v31, 1                                // 00000000AD84: D1FF001C 02063F1A
	v_cndmask_b32_e64 v20, v28, v30, s[38:39]                  // 00000000AD8C: D1000014 009A3D1C
	v_cmp_u_f32_e64 s[38:39], v27, v27                         // 00000000AD94: D0480026 0002371B
	v_add3_u32 v28, v27, v31, 1                                // 00000000AD9C: D1FF001C 02063F1B
	v_cndmask_b32_e64 v21, v28, v30, s[38:39]                  // 00000000ADA4: D1000015 009A3D1C
	v_perm_b32 v25, v21, v20, s52                              // 00000000ADAC: D1ED0019 00D22915
	ds_write_b64 v5, v[24:25] offset:3600                      // 00000000ADB4: D89A0E10 00001805
	s_waitcnt lgkmcnt(4)                                       // 00000000ADBC: BF8CC47F
	ds_read_b64 v[40:41], v4                                   // 00000000ADC0: D8EC0000 28000004
	ds_read_b64 v[44:45], v4 offset:64                         // 00000000ADC8: D8EC0040 2C000004
	ds_read_b64 v[42:43], v4 offset:1152                       // 00000000ADD0: D8EC0480 2A000004
	ds_read_b64 v[46:47], v4 offset:1216                       // 00000000ADD8: D8EC04C0 2E000004
	s_waitcnt lgkmcnt(4)                                       // 00000000ADE0: BF8CC47F
	ds_read_b64 v[48:49], v4 offset:2304                       // 00000000ADE4: D8EC0900 30000004
	ds_read_b64 v[52:53], v4 offset:2368                       // 00000000ADEC: D8EC0940 34000004
	ds_read_b64 v[50:51], v4 offset:3456                       // 00000000ADF4: D8EC0D80 32000004
	ds_read_b64 v[54:55], v4 offset:3520                       // 00000000ADFC: D8EC0DC0 36000004
	s_waitcnt lgkmcnt(0)                                       // 00000000AE04: BF8CC07F
	v_mov_b32_e32 v18, v19                                     // 00000000AE08: 7E240313
	buffer_store_dwordx4 v[40:43], v18, s[8:11], 0 offen       // 00000000AE0C: E07C1000 80022812
	buffer_store_dwordx4 v[48:51], v18, s[8:11], 0 offen offset:128// 00000000AE14: E07C1080 80023012
	v_add_u32_e32 v18, 0x2000, v18                             // 00000000AE1C: 682424FF 00002000
	buffer_store_dwordx4 v[44:47], v18, s[8:11], 0 offen       // 00000000AE24: E07C1000 80022C12
	buffer_store_dwordx4 v[52:55], v18, s[8:11], 0 offen offset:128// 00000000AE2C: E07C1080 80023412
	v_add_u32_e32 v18, 0x2000, v18                             // 00000000AE34: 682424FF 00002000
	v_mov_b32_e32 v24, v180                                    // 00000000AE3C: 7E3003B4
	v_mov_b32_e32 v25, v184                                    // 00000000AE40: 7E3203B8
	v_mov_b32_e32 v26, v188                                    // 00000000AE44: 7E3403BC
	v_mov_b32_e32 v27, v192                                    // 00000000AE48: 7E3603C0
	v_cmp_u_f32_e64 s[38:39], v24, v24                         // 00000000AE4C: D0480026 00023118
	v_add3_u32 v28, v24, v31, 1                                // 00000000AE54: D1FF001C 02063F18
	v_cndmask_b32_e64 v20, v28, v30, s[38:39]                  // 00000000AE5C: D1000014 009A3D1C
	v_cmp_u_f32_e64 s[38:39], v25, v25                         // 00000000AE64: D0480026 00023319
	v_add3_u32 v28, v25, v31, 1                                // 00000000AE6C: D1FF001C 02063F19
	v_cndmask_b32_e64 v21, v28, v30, s[38:39]                  // 00000000AE74: D1000015 009A3D1C
	v_perm_b32 v24, v21, v20, s52                              // 00000000AE7C: D1ED0018 00D22915
	v_cmp_u_f32_e64 s[38:39], v26, v26                         // 00000000AE84: D0480026 0002351A
	v_add3_u32 v28, v26, v31, 1                                // 00000000AE8C: D1FF001C 02063F1A
	v_cndmask_b32_e64 v20, v28, v30, s[38:39]                  // 00000000AE94: D1000014 009A3D1C
	v_cmp_u_f32_e64 s[38:39], v27, v27                         // 00000000AE9C: D0480026 0002371B
	v_add3_u32 v28, v27, v31, 1                                // 00000000AEA4: D1FF001C 02063F1B
	v_cndmask_b32_e64 v21, v28, v30, s[38:39]                  // 00000000AEAC: D1000015 009A3D1C
	v_perm_b32 v25, v21, v20, s52                              // 00000000AEB4: D1ED0019 00D22915
	ds_write_b64 v5, v[24:25]                                  // 00000000AEBC: D89A0000 00001805
	v_mov_b32_e32 v24, v181                                    // 00000000AEC4: 7E3003B5
	v_mov_b32_e32 v25, v185                                    // 00000000AEC8: 7E3203B9
	v_mov_b32_e32 v26, v189                                    // 00000000AECC: 7E3403BD
	v_mov_b32_e32 v27, v193                                    // 00000000AED0: 7E3603C1
	v_cmp_u_f32_e64 s[38:39], v24, v24                         // 00000000AED4: D0480026 00023118
	v_add3_u32 v28, v24, v31, 1                                // 00000000AEDC: D1FF001C 02063F18
	v_cndmask_b32_e64 v20, v28, v30, s[38:39]                  // 00000000AEE4: D1000014 009A3D1C
	v_cmp_u_f32_e64 s[38:39], v25, v25                         // 00000000AEEC: D0480026 00023319
	v_add3_u32 v28, v25, v31, 1                                // 00000000AEF4: D1FF001C 02063F19
	v_cndmask_b32_e64 v21, v28, v30, s[38:39]                  // 00000000AEFC: D1000015 009A3D1C
	v_perm_b32 v24, v21, v20, s52                              // 00000000AF04: D1ED0018 00D22915
	v_cmp_u_f32_e64 s[38:39], v26, v26                         // 00000000AF0C: D0480026 0002351A
	v_add3_u32 v28, v26, v31, 1                                // 00000000AF14: D1FF001C 02063F1A
	v_cndmask_b32_e64 v20, v28, v30, s[38:39]                  // 00000000AF1C: D1000014 009A3D1C
	v_cmp_u_f32_e64 s[38:39], v27, v27                         // 00000000AF24: D0480026 0002371B
	v_add3_u32 v28, v27, v31, 1                                // 00000000AF2C: D1FF001C 02063F1B
	v_cndmask_b32_e64 v21, v28, v30, s[38:39]                  // 00000000AF34: D1000015 009A3D1C
	v_perm_b32 v25, v21, v20, s52                              // 00000000AF3C: D1ED0019 00D22915
	ds_write_b64 v5, v[24:25] offset:1152                      // 00000000AF44: D89A0480 00001805
	v_mov_b32_e32 v24, v182                                    // 00000000AF4C: 7E3003B6
	v_mov_b32_e32 v25, v186                                    // 00000000AF50: 7E3203BA
	v_mov_b32_e32 v26, v190                                    // 00000000AF54: 7E3403BE
	v_mov_b32_e32 v27, v194                                    // 00000000AF58: 7E3603C2
	v_cmp_u_f32_e64 s[38:39], v24, v24                         // 00000000AF5C: D0480026 00023118
	v_add3_u32 v28, v24, v31, 1                                // 00000000AF64: D1FF001C 02063F18
	v_cndmask_b32_e64 v20, v28, v30, s[38:39]                  // 00000000AF6C: D1000014 009A3D1C
	v_cmp_u_f32_e64 s[38:39], v25, v25                         // 00000000AF74: D0480026 00023319
	v_add3_u32 v28, v25, v31, 1                                // 00000000AF7C: D1FF001C 02063F19
	v_cndmask_b32_e64 v21, v28, v30, s[38:39]                  // 00000000AF84: D1000015 009A3D1C
	v_perm_b32 v24, v21, v20, s52                              // 00000000AF8C: D1ED0018 00D22915
	v_cmp_u_f32_e64 s[38:39], v26, v26                         // 00000000AF94: D0480026 0002351A
	v_add3_u32 v28, v26, v31, 1                                // 00000000AF9C: D1FF001C 02063F1A
	v_cndmask_b32_e64 v20, v28, v30, s[38:39]                  // 00000000AFA4: D1000014 009A3D1C
	v_cmp_u_f32_e64 s[38:39], v27, v27                         // 00000000AFAC: D0480026 0002371B
	v_add3_u32 v28, v27, v31, 1                                // 00000000AFB4: D1FF001C 02063F1B
	v_cndmask_b32_e64 v21, v28, v30, s[38:39]                  // 00000000AFBC: D1000015 009A3D1C
	v_perm_b32 v25, v21, v20, s52                              // 00000000AFC4: D1ED0019 00D22915
	ds_write_b64 v5, v[24:25] offset:144                       // 00000000AFCC: D89A0090 00001805
	v_mov_b32_e32 v24, v183                                    // 00000000AFD4: 7E3003B7
	v_mov_b32_e32 v25, v187                                    // 00000000AFD8: 7E3203BB
	v_mov_b32_e32 v26, v191                                    // 00000000AFDC: 7E3403BF
	v_mov_b32_e32 v27, v195                                    // 00000000AFE0: 7E3603C3
	v_cmp_u_f32_e64 s[38:39], v24, v24                         // 00000000AFE4: D0480026 00023118
	v_add3_u32 v28, v24, v31, 1                                // 00000000AFEC: D1FF001C 02063F18
	v_cndmask_b32_e64 v20, v28, v30, s[38:39]                  // 00000000AFF4: D1000014 009A3D1C
	v_cmp_u_f32_e64 s[38:39], v25, v25                         // 00000000AFFC: D0480026 00023319
	v_add3_u32 v28, v25, v31, 1                                // 00000000B004: D1FF001C 02063F19
	v_cndmask_b32_e64 v21, v28, v30, s[38:39]                  // 00000000B00C: D1000015 009A3D1C
	v_perm_b32 v24, v21, v20, s52                              // 00000000B014: D1ED0018 00D22915
	v_cmp_u_f32_e64 s[38:39], v26, v26                         // 00000000B01C: D0480026 0002351A
	v_add3_u32 v28, v26, v31, 1                                // 00000000B024: D1FF001C 02063F1A
	v_cndmask_b32_e64 v20, v28, v30, s[38:39]                  // 00000000B02C: D1000014 009A3D1C
	v_cmp_u_f32_e64 s[38:39], v27, v27                         // 00000000B034: D0480026 0002371B
	v_add3_u32 v28, v27, v31, 1                                // 00000000B03C: D1FF001C 02063F1B
	v_cndmask_b32_e64 v21, v28, v30, s[38:39]                  // 00000000B044: D1000015 009A3D1C
	v_perm_b32 v25, v21, v20, s52                              // 00000000B04C: D1ED0019 00D22915
	ds_write_b64 v5, v[24:25] offset:1296                      // 00000000B054: D89A0510 00001805
	v_mov_b32_e32 v24, v196                                    // 00000000B05C: 7E3003C4
	v_mov_b32_e32 v25, v200                                    // 00000000B060: 7E3203C8
	v_mov_b32_e32 v26, v204                                    // 00000000B064: 7E3403CC
	v_mov_b32_e32 v27, v208                                    // 00000000B068: 7E3603D0
	v_cmp_u_f32_e64 s[38:39], v24, v24                         // 00000000B06C: D0480026 00023118
	v_add3_u32 v28, v24, v31, 1                                // 00000000B074: D1FF001C 02063F18
	v_cndmask_b32_e64 v20, v28, v30, s[38:39]                  // 00000000B07C: D1000014 009A3D1C
	v_cmp_u_f32_e64 s[38:39], v25, v25                         // 00000000B084: D0480026 00023319
	v_add3_u32 v28, v25, v31, 1                                // 00000000B08C: D1FF001C 02063F19
	v_cndmask_b32_e64 v21, v28, v30, s[38:39]                  // 00000000B094: D1000015 009A3D1C
	v_perm_b32 v24, v21, v20, s52                              // 00000000B09C: D1ED0018 00D22915
	v_cmp_u_f32_e64 s[38:39], v26, v26                         // 00000000B0A4: D0480026 0002351A
	v_add3_u32 v28, v26, v31, 1                                // 00000000B0AC: D1FF001C 02063F1A
	v_cndmask_b32_e64 v20, v28, v30, s[38:39]                  // 00000000B0B4: D1000014 009A3D1C
	v_cmp_u_f32_e64 s[38:39], v27, v27                         // 00000000B0BC: D0480026 0002371B
	v_add3_u32 v28, v27, v31, 1                                // 00000000B0C4: D1FF001C 02063F1B
	v_cndmask_b32_e64 v21, v28, v30, s[38:39]                  // 00000000B0CC: D1000015 009A3D1C
	v_perm_b32 v25, v21, v20, s52                              // 00000000B0D4: D1ED0019 00D22915
	ds_write_b64 v5, v[24:25] offset:2304                      // 00000000B0DC: D89A0900 00001805
	v_mov_b32_e32 v24, v197                                    // 00000000B0E4: 7E3003C5
	v_mov_b32_e32 v25, v201                                    // 00000000B0E8: 7E3203C9
	v_mov_b32_e32 v26, v205                                    // 00000000B0EC: 7E3403CD
	v_mov_b32_e32 v27, v209                                    // 00000000B0F0: 7E3603D1
	v_cmp_u_f32_e64 s[38:39], v24, v24                         // 00000000B0F4: D0480026 00023118
	v_add3_u32 v28, v24, v31, 1                                // 00000000B0FC: D1FF001C 02063F18
	v_cndmask_b32_e64 v20, v28, v30, s[38:39]                  // 00000000B104: D1000014 009A3D1C
	v_cmp_u_f32_e64 s[38:39], v25, v25                         // 00000000B10C: D0480026 00023319
	v_add3_u32 v28, v25, v31, 1                                // 00000000B114: D1FF001C 02063F19
	v_cndmask_b32_e64 v21, v28, v30, s[38:39]                  // 00000000B11C: D1000015 009A3D1C
	v_perm_b32 v24, v21, v20, s52                              // 00000000B124: D1ED0018 00D22915
	v_cmp_u_f32_e64 s[38:39], v26, v26                         // 00000000B12C: D0480026 0002351A
	v_add3_u32 v28, v26, v31, 1                                // 00000000B134: D1FF001C 02063F1A
	v_cndmask_b32_e64 v20, v28, v30, s[38:39]                  // 00000000B13C: D1000014 009A3D1C
	v_cmp_u_f32_e64 s[38:39], v27, v27                         // 00000000B144: D0480026 0002371B
	v_add3_u32 v28, v27, v31, 1                                // 00000000B14C: D1FF001C 02063F1B
	v_cndmask_b32_e64 v21, v28, v30, s[38:39]                  // 00000000B154: D1000015 009A3D1C
	v_perm_b32 v25, v21, v20, s52                              // 00000000B15C: D1ED0019 00D22915
	ds_write_b64 v5, v[24:25] offset:3456                      // 00000000B164: D89A0D80 00001805
	v_mov_b32_e32 v24, v198                                    // 00000000B16C: 7E3003C6
	v_mov_b32_e32 v25, v202                                    // 00000000B170: 7E3203CA
	v_mov_b32_e32 v26, v206                                    // 00000000B174: 7E3403CE
	v_mov_b32_e32 v27, v210                                    // 00000000B178: 7E3603D2
	v_cmp_u_f32_e64 s[38:39], v24, v24                         // 00000000B17C: D0480026 00023118
	v_add3_u32 v28, v24, v31, 1                                // 00000000B184: D1FF001C 02063F18
	v_cndmask_b32_e64 v20, v28, v30, s[38:39]                  // 00000000B18C: D1000014 009A3D1C
	v_cmp_u_f32_e64 s[38:39], v25, v25                         // 00000000B194: D0480026 00023319
	v_add3_u32 v28, v25, v31, 1                                // 00000000B19C: D1FF001C 02063F19
	v_cndmask_b32_e64 v21, v28, v30, s[38:39]                  // 00000000B1A4: D1000015 009A3D1C
	v_perm_b32 v24, v21, v20, s52                              // 00000000B1AC: D1ED0018 00D22915
	v_cmp_u_f32_e64 s[38:39], v26, v26                         // 00000000B1B4: D0480026 0002351A
	v_add3_u32 v28, v26, v31, 1                                // 00000000B1BC: D1FF001C 02063F1A
	v_cndmask_b32_e64 v20, v28, v30, s[38:39]                  // 00000000B1C4: D1000014 009A3D1C
	v_cmp_u_f32_e64 s[38:39], v27, v27                         // 00000000B1CC: D0480026 0002371B
	v_add3_u32 v28, v27, v31, 1                                // 00000000B1D4: D1FF001C 02063F1B
	v_cndmask_b32_e64 v21, v28, v30, s[38:39]                  // 00000000B1DC: D1000015 009A3D1C
	v_perm_b32 v25, v21, v20, s52                              // 00000000B1E4: D1ED0019 00D22915
	ds_write_b64 v5, v[24:25] offset:2448                      // 00000000B1EC: D89A0990 00001805
	v_mov_b32_e32 v24, v199                                    // 00000000B1F4: 7E3003C7
	v_mov_b32_e32 v25, v203                                    // 00000000B1F8: 7E3203CB
	v_mov_b32_e32 v26, v207                                    // 00000000B1FC: 7E3403CF
	v_mov_b32_e32 v27, v211                                    // 00000000B200: 7E3603D3
	v_cmp_u_f32_e64 s[38:39], v24, v24                         // 00000000B204: D0480026 00023118
	v_add3_u32 v28, v24, v31, 1                                // 00000000B20C: D1FF001C 02063F18
	v_cndmask_b32_e64 v20, v28, v30, s[38:39]                  // 00000000B214: D1000014 009A3D1C
	v_cmp_u_f32_e64 s[38:39], v25, v25                         // 00000000B21C: D0480026 00023319
	v_add3_u32 v28, v25, v31, 1                                // 00000000B224: D1FF001C 02063F19
	v_cndmask_b32_e64 v21, v28, v30, s[38:39]                  // 00000000B22C: D1000015 009A3D1C
	v_perm_b32 v24, v21, v20, s52                              // 00000000B234: D1ED0018 00D22915
	v_cmp_u_f32_e64 s[38:39], v26, v26                         // 00000000B23C: D0480026 0002351A
	v_add3_u32 v28, v26, v31, 1                                // 00000000B244: D1FF001C 02063F1A
	v_cndmask_b32_e64 v20, v28, v30, s[38:39]                  // 00000000B24C: D1000014 009A3D1C
	v_cmp_u_f32_e64 s[38:39], v27, v27                         // 00000000B254: D0480026 0002371B
	v_add3_u32 v28, v27, v31, 1                                // 00000000B25C: D1FF001C 02063F1B
	v_cndmask_b32_e64 v21, v28, v30, s[38:39]                  // 00000000B264: D1000015 009A3D1C
	v_perm_b32 v25, v21, v20, s52                              // 00000000B26C: D1ED0019 00D22915
	ds_write_b64 v5, v[24:25] offset:3600                      // 00000000B274: D89A0E10 00001805
	s_waitcnt lgkmcnt(4)                                       // 00000000B27C: BF8CC47F
	ds_read_b64 v[40:41], v4                                   // 00000000B280: D8EC0000 28000004
	ds_read_b64 v[44:45], v4 offset:64                         // 00000000B288: D8EC0040 2C000004
	ds_read_b64 v[42:43], v4 offset:1152                       // 00000000B290: D8EC0480 2A000004
	ds_read_b64 v[46:47], v4 offset:1216                       // 00000000B298: D8EC04C0 2E000004
	s_waitcnt lgkmcnt(4)                                       // 00000000B2A0: BF8CC47F
	ds_read_b64 v[48:49], v4 offset:2304                       // 00000000B2A4: D8EC0900 30000004
	ds_read_b64 v[52:53], v4 offset:2368                       // 00000000B2AC: D8EC0940 34000004
	ds_read_b64 v[50:51], v4 offset:3456                       // 00000000B2B4: D8EC0D80 32000004
	ds_read_b64 v[54:55], v4 offset:3520                       // 00000000B2BC: D8EC0DC0 36000004
	s_waitcnt lgkmcnt(0)                                       // 00000000B2C4: BF8CC07F
	v_mov_b32_e32 v18, v19                                     // 00000000B2C8: 7E240313
	buffer_store_dwordx4 v[40:43], v18, s[8:11], 0 offen offset:256// 00000000B2CC: E07C1100 80022812
	buffer_store_dwordx4 v[48:51], v18, s[8:11], 0 offen offset:384// 00000000B2D4: E07C1180 80023012
	v_add_u32_e32 v18, 0x2000, v18                             // 00000000B2DC: 682424FF 00002000
	buffer_store_dwordx4 v[44:47], v18, s[8:11], 0 offen offset:256// 00000000B2E4: E07C1100 80022C12
	buffer_store_dwordx4 v[52:55], v18, s[8:11], 0 offen offset:384// 00000000B2EC: E07C1180 80023412
	v_add_u32_e32 v18, 0x2000, v18                             // 00000000B2F4: 682424FF 00002000
	v_mov_b32_e32 v24, v212                                    // 00000000B2FC: 7E3003D4
	v_mov_b32_e32 v25, v216                                    // 00000000B300: 7E3203D8
	v_mov_b32_e32 v26, v220                                    // 00000000B304: 7E3403DC
	v_mov_b32_e32 v27, v224                                    // 00000000B308: 7E3603E0
	v_cmp_u_f32_e64 s[38:39], v24, v24                         // 00000000B30C: D0480026 00023118
	v_add3_u32 v28, v24, v31, 1                                // 00000000B314: D1FF001C 02063F18
	v_cndmask_b32_e64 v20, v28, v30, s[38:39]                  // 00000000B31C: D1000014 009A3D1C
	v_cmp_u_f32_e64 s[38:39], v25, v25                         // 00000000B324: D0480026 00023319
	v_add3_u32 v28, v25, v31, 1                                // 00000000B32C: D1FF001C 02063F19
	v_cndmask_b32_e64 v21, v28, v30, s[38:39]                  // 00000000B334: D1000015 009A3D1C
	v_perm_b32 v24, v21, v20, s52                              // 00000000B33C: D1ED0018 00D22915
	v_cmp_u_f32_e64 s[38:39], v26, v26                         // 00000000B344: D0480026 0002351A
	v_add3_u32 v28, v26, v31, 1                                // 00000000B34C: D1FF001C 02063F1A
	v_cndmask_b32_e64 v20, v28, v30, s[38:39]                  // 00000000B354: D1000014 009A3D1C
	v_cmp_u_f32_e64 s[38:39], v27, v27                         // 00000000B35C: D0480026 0002371B
	v_add3_u32 v28, v27, v31, 1                                // 00000000B364: D1FF001C 02063F1B
	v_cndmask_b32_e64 v21, v28, v30, s[38:39]                  // 00000000B36C: D1000015 009A3D1C
	v_perm_b32 v25, v21, v20, s52                              // 00000000B374: D1ED0019 00D22915
	ds_write_b64 v5, v[24:25]                                  // 00000000B37C: D89A0000 00001805
	v_mov_b32_e32 v24, v213                                    // 00000000B384: 7E3003D5
	v_mov_b32_e32 v25, v217                                    // 00000000B388: 7E3203D9
	v_mov_b32_e32 v26, v221                                    // 00000000B38C: 7E3403DD
	v_mov_b32_e32 v27, v225                                    // 00000000B390: 7E3603E1
	v_cmp_u_f32_e64 s[38:39], v24, v24                         // 00000000B394: D0480026 00023118
	v_add3_u32 v28, v24, v31, 1                                // 00000000B39C: D1FF001C 02063F18
	v_cndmask_b32_e64 v20, v28, v30, s[38:39]                  // 00000000B3A4: D1000014 009A3D1C
	v_cmp_u_f32_e64 s[38:39], v25, v25                         // 00000000B3AC: D0480026 00023319
	v_add3_u32 v28, v25, v31, 1                                // 00000000B3B4: D1FF001C 02063F19
	v_cndmask_b32_e64 v21, v28, v30, s[38:39]                  // 00000000B3BC: D1000015 009A3D1C
	v_perm_b32 v24, v21, v20, s52                              // 00000000B3C4: D1ED0018 00D22915
	v_cmp_u_f32_e64 s[38:39], v26, v26                         // 00000000B3CC: D0480026 0002351A
	v_add3_u32 v28, v26, v31, 1                                // 00000000B3D4: D1FF001C 02063F1A
	v_cndmask_b32_e64 v20, v28, v30, s[38:39]                  // 00000000B3DC: D1000014 009A3D1C
	v_cmp_u_f32_e64 s[38:39], v27, v27                         // 00000000B3E4: D0480026 0002371B
	v_add3_u32 v28, v27, v31, 1                                // 00000000B3EC: D1FF001C 02063F1B
	v_cndmask_b32_e64 v21, v28, v30, s[38:39]                  // 00000000B3F4: D1000015 009A3D1C
	v_perm_b32 v25, v21, v20, s52                              // 00000000B3FC: D1ED0019 00D22915
	ds_write_b64 v5, v[24:25] offset:1152                      // 00000000B404: D89A0480 00001805
	v_mov_b32_e32 v24, v214                                    // 00000000B40C: 7E3003D6
	v_mov_b32_e32 v25, v218                                    // 00000000B410: 7E3203DA
	v_mov_b32_e32 v26, v222                                    // 00000000B414: 7E3403DE
	v_mov_b32_e32 v27, v226                                    // 00000000B418: 7E3603E2
	v_cmp_u_f32_e64 s[38:39], v24, v24                         // 00000000B41C: D0480026 00023118
	v_add3_u32 v28, v24, v31, 1                                // 00000000B424: D1FF001C 02063F18
	v_cndmask_b32_e64 v20, v28, v30, s[38:39]                  // 00000000B42C: D1000014 009A3D1C
	v_cmp_u_f32_e64 s[38:39], v25, v25                         // 00000000B434: D0480026 00023319
	v_add3_u32 v28, v25, v31, 1                                // 00000000B43C: D1FF001C 02063F19
	v_cndmask_b32_e64 v21, v28, v30, s[38:39]                  // 00000000B444: D1000015 009A3D1C
	v_perm_b32 v24, v21, v20, s52                              // 00000000B44C: D1ED0018 00D22915
	v_cmp_u_f32_e64 s[38:39], v26, v26                         // 00000000B454: D0480026 0002351A
	v_add3_u32 v28, v26, v31, 1                                // 00000000B45C: D1FF001C 02063F1A
	v_cndmask_b32_e64 v20, v28, v30, s[38:39]                  // 00000000B464: D1000014 009A3D1C
	v_cmp_u_f32_e64 s[38:39], v27, v27                         // 00000000B46C: D0480026 0002371B
	v_add3_u32 v28, v27, v31, 1                                // 00000000B474: D1FF001C 02063F1B
	v_cndmask_b32_e64 v21, v28, v30, s[38:39]                  // 00000000B47C: D1000015 009A3D1C
	v_perm_b32 v25, v21, v20, s52                              // 00000000B484: D1ED0019 00D22915
	ds_write_b64 v5, v[24:25] offset:144                       // 00000000B48C: D89A0090 00001805
	v_mov_b32_e32 v24, v215                                    // 00000000B494: 7E3003D7
	v_mov_b32_e32 v25, v219                                    // 00000000B498: 7E3203DB
	v_mov_b32_e32 v26, v223                                    // 00000000B49C: 7E3403DF
	v_mov_b32_e32 v27, v227                                    // 00000000B4A0: 7E3603E3
	v_cmp_u_f32_e64 s[38:39], v24, v24                         // 00000000B4A4: D0480026 00023118
	v_add3_u32 v28, v24, v31, 1                                // 00000000B4AC: D1FF001C 02063F18
	v_cndmask_b32_e64 v20, v28, v30, s[38:39]                  // 00000000B4B4: D1000014 009A3D1C
	v_cmp_u_f32_e64 s[38:39], v25, v25                         // 00000000B4BC: D0480026 00023319
	v_add3_u32 v28, v25, v31, 1                                // 00000000B4C4: D1FF001C 02063F19
	v_cndmask_b32_e64 v21, v28, v30, s[38:39]                  // 00000000B4CC: D1000015 009A3D1C
	v_perm_b32 v24, v21, v20, s52                              // 00000000B4D4: D1ED0018 00D22915
	v_cmp_u_f32_e64 s[38:39], v26, v26                         // 00000000B4DC: D0480026 0002351A
	v_add3_u32 v28, v26, v31, 1                                // 00000000B4E4: D1FF001C 02063F1A
	v_cndmask_b32_e64 v20, v28, v30, s[38:39]                  // 00000000B4EC: D1000014 009A3D1C
	v_cmp_u_f32_e64 s[38:39], v27, v27                         // 00000000B4F4: D0480026 0002371B
	v_add3_u32 v28, v27, v31, 1                                // 00000000B4FC: D1FF001C 02063F1B
	v_cndmask_b32_e64 v21, v28, v30, s[38:39]                  // 00000000B504: D1000015 009A3D1C
	v_perm_b32 v25, v21, v20, s52                              // 00000000B50C: D1ED0019 00D22915
	ds_write_b64 v5, v[24:25] offset:1296                      // 00000000B514: D89A0510 00001805
	v_mov_b32_e32 v24, v228                                    // 00000000B51C: 7E3003E4
	v_mov_b32_e32 v25, v232                                    // 00000000B520: 7E3203E8
	v_mov_b32_e32 v26, v236                                    // 00000000B524: 7E3403EC
	v_mov_b32_e32 v27, v240                                    // 00000000B528: 7E3603F0
	v_cmp_u_f32_e64 s[38:39], v24, v24                         // 00000000B52C: D0480026 00023118
	v_add3_u32 v28, v24, v31, 1                                // 00000000B534: D1FF001C 02063F18
	v_cndmask_b32_e64 v20, v28, v30, s[38:39]                  // 00000000B53C: D1000014 009A3D1C
	v_cmp_u_f32_e64 s[38:39], v25, v25                         // 00000000B544: D0480026 00023319
	v_add3_u32 v28, v25, v31, 1                                // 00000000B54C: D1FF001C 02063F19
	v_cndmask_b32_e64 v21, v28, v30, s[38:39]                  // 00000000B554: D1000015 009A3D1C
	v_perm_b32 v24, v21, v20, s52                              // 00000000B55C: D1ED0018 00D22915
	v_cmp_u_f32_e64 s[38:39], v26, v26                         // 00000000B564: D0480026 0002351A
	v_add3_u32 v28, v26, v31, 1                                // 00000000B56C: D1FF001C 02063F1A
	v_cndmask_b32_e64 v20, v28, v30, s[38:39]                  // 00000000B574: D1000014 009A3D1C
	v_cmp_u_f32_e64 s[38:39], v27, v27                         // 00000000B57C: D0480026 0002371B
	v_add3_u32 v28, v27, v31, 1                                // 00000000B584: D1FF001C 02063F1B
	v_cndmask_b32_e64 v21, v28, v30, s[38:39]                  // 00000000B58C: D1000015 009A3D1C
	v_perm_b32 v25, v21, v20, s52                              // 00000000B594: D1ED0019 00D22915
	ds_write_b64 v5, v[24:25] offset:2304                      // 00000000B59C: D89A0900 00001805
	v_mov_b32_e32 v24, v229                                    // 00000000B5A4: 7E3003E5
	v_mov_b32_e32 v25, v233                                    // 00000000B5A8: 7E3203E9
	v_mov_b32_e32 v26, v237                                    // 00000000B5AC: 7E3403ED
	v_mov_b32_e32 v27, v241                                    // 00000000B5B0: 7E3603F1
	v_cmp_u_f32_e64 s[38:39], v24, v24                         // 00000000B5B4: D0480026 00023118
	v_add3_u32 v28, v24, v31, 1                                // 00000000B5BC: D1FF001C 02063F18
	v_cndmask_b32_e64 v20, v28, v30, s[38:39]                  // 00000000B5C4: D1000014 009A3D1C
	v_cmp_u_f32_e64 s[38:39], v25, v25                         // 00000000B5CC: D0480026 00023319
	v_add3_u32 v28, v25, v31, 1                                // 00000000B5D4: D1FF001C 02063F19
	v_cndmask_b32_e64 v21, v28, v30, s[38:39]                  // 00000000B5DC: D1000015 009A3D1C
	v_perm_b32 v24, v21, v20, s52                              // 00000000B5E4: D1ED0018 00D22915
	v_cmp_u_f32_e64 s[38:39], v26, v26                         // 00000000B5EC: D0480026 0002351A
	v_add3_u32 v28, v26, v31, 1                                // 00000000B5F4: D1FF001C 02063F1A
	v_cndmask_b32_e64 v20, v28, v30, s[38:39]                  // 00000000B5FC: D1000014 009A3D1C
	v_cmp_u_f32_e64 s[38:39], v27, v27                         // 00000000B604: D0480026 0002371B
	v_add3_u32 v28, v27, v31, 1                                // 00000000B60C: D1FF001C 02063F1B
	v_cndmask_b32_e64 v21, v28, v30, s[38:39]                  // 00000000B614: D1000015 009A3D1C
	v_perm_b32 v25, v21, v20, s52                              // 00000000B61C: D1ED0019 00D22915
	ds_write_b64 v5, v[24:25] offset:3456                      // 00000000B624: D89A0D80 00001805
	v_mov_b32_e32 v24, v230                                    // 00000000B62C: 7E3003E6
	v_mov_b32_e32 v25, v234                                    // 00000000B630: 7E3203EA
	v_mov_b32_e32 v26, v238                                    // 00000000B634: 7E3403EE
	v_mov_b32_e32 v27, v242                                    // 00000000B638: 7E3603F2
	v_cmp_u_f32_e64 s[38:39], v24, v24                         // 00000000B63C: D0480026 00023118
	v_add3_u32 v28, v24, v31, 1                                // 00000000B644: D1FF001C 02063F18
	v_cndmask_b32_e64 v20, v28, v30, s[38:39]                  // 00000000B64C: D1000014 009A3D1C
	v_cmp_u_f32_e64 s[38:39], v25, v25                         // 00000000B654: D0480026 00023319
	v_add3_u32 v28, v25, v31, 1                                // 00000000B65C: D1FF001C 02063F19
	v_cndmask_b32_e64 v21, v28, v30, s[38:39]                  // 00000000B664: D1000015 009A3D1C
	v_perm_b32 v24, v21, v20, s52                              // 00000000B66C: D1ED0018 00D22915
	v_cmp_u_f32_e64 s[38:39], v26, v26                         // 00000000B674: D0480026 0002351A
	v_add3_u32 v28, v26, v31, 1                                // 00000000B67C: D1FF001C 02063F1A
	v_cndmask_b32_e64 v20, v28, v30, s[38:39]                  // 00000000B684: D1000014 009A3D1C
	v_cmp_u_f32_e64 s[38:39], v27, v27                         // 00000000B68C: D0480026 0002371B
	v_add3_u32 v28, v27, v31, 1                                // 00000000B694: D1FF001C 02063F1B
	v_cndmask_b32_e64 v21, v28, v30, s[38:39]                  // 00000000B69C: D1000015 009A3D1C
	v_perm_b32 v25, v21, v20, s52                              // 00000000B6A4: D1ED0019 00D22915
	ds_write_b64 v5, v[24:25] offset:2448                      // 00000000B6AC: D89A0990 00001805
	v_mov_b32_e32 v24, v231                                    // 00000000B6B4: 7E3003E7
	v_mov_b32_e32 v25, v235                                    // 00000000B6B8: 7E3203EB
	v_mov_b32_e32 v26, v239                                    // 00000000B6BC: 7E3403EF
	v_mov_b32_e32 v27, v243                                    // 00000000B6C0: 7E3603F3
	v_cmp_u_f32_e64 s[38:39], v24, v24                         // 00000000B6C4: D0480026 00023118
	v_add3_u32 v28, v24, v31, 1                                // 00000000B6CC: D1FF001C 02063F18
	v_cndmask_b32_e64 v20, v28, v30, s[38:39]                  // 00000000B6D4: D1000014 009A3D1C
	v_cmp_u_f32_e64 s[38:39], v25, v25                         // 00000000B6DC: D0480026 00023319
	v_add3_u32 v28, v25, v31, 1                                // 00000000B6E4: D1FF001C 02063F19
	v_cndmask_b32_e64 v21, v28, v30, s[38:39]                  // 00000000B6EC: D1000015 009A3D1C
	v_perm_b32 v24, v21, v20, s52                              // 00000000B6F4: D1ED0018 00D22915
	v_cmp_u_f32_e64 s[38:39], v26, v26                         // 00000000B6FC: D0480026 0002351A
	v_add3_u32 v28, v26, v31, 1                                // 00000000B704: D1FF001C 02063F1A
	v_cndmask_b32_e64 v20, v28, v30, s[38:39]                  // 00000000B70C: D1000014 009A3D1C
	v_cmp_u_f32_e64 s[38:39], v27, v27                         // 00000000B714: D0480026 0002371B
	v_add3_u32 v28, v27, v31, 1                                // 00000000B71C: D1FF001C 02063F1B
	v_cndmask_b32_e64 v21, v28, v30, s[38:39]                  // 00000000B724: D1000015 009A3D1C
	v_perm_b32 v25, v21, v20, s52                              // 00000000B72C: D1ED0019 00D22915
	ds_write_b64 v5, v[24:25] offset:3600                      // 00000000B734: D89A0E10 00001805
	s_waitcnt lgkmcnt(4)                                       // 00000000B73C: BF8CC47F
	ds_read_b64 v[40:41], v4                                   // 00000000B740: D8EC0000 28000004
	ds_read_b64 v[44:45], v4 offset:64                         // 00000000B748: D8EC0040 2C000004
	ds_read_b64 v[42:43], v4 offset:1152                       // 00000000B750: D8EC0480 2A000004
	ds_read_b64 v[46:47], v4 offset:1216                       // 00000000B758: D8EC04C0 2E000004
	s_waitcnt lgkmcnt(4)                                       // 00000000B760: BF8CC47F
	ds_read_b64 v[48:49], v4 offset:2304                       // 00000000B764: D8EC0900 30000004
	ds_read_b64 v[52:53], v4 offset:2368                       // 00000000B76C: D8EC0940 34000004
	ds_read_b64 v[50:51], v4 offset:3456                       // 00000000B774: D8EC0D80 32000004
	ds_read_b64 v[54:55], v4 offset:3520                       // 00000000B77C: D8EC0DC0 36000004
	s_waitcnt lgkmcnt(0)                                       // 00000000B784: BF8CC07F
	v_mov_b32_e32 v18, v19                                     // 00000000B788: 7E240313
	buffer_store_dwordx4 v[40:43], v18, s[8:11], 0 offen offset:512// 00000000B78C: E07C1200 80022812
	buffer_store_dwordx4 v[48:51], v18, s[8:11], 0 offen offset:640// 00000000B794: E07C1280 80023012
	v_add_u32_e32 v18, 0x2000, v18                             // 00000000B79C: 682424FF 00002000
	buffer_store_dwordx4 v[44:47], v18, s[8:11], 0 offen offset:512// 00000000B7A4: E07C1200 80022C12
	buffer_store_dwordx4 v[52:55], v18, s[8:11], 0 offen offset:640// 00000000B7AC: E07C1280 80023412
	v_add_u32_e32 v18, 0x2000, v18                             // 00000000B7B4: 682424FF 00002000
	v_mov_b32_e32 v24, v244                                    // 00000000B7BC: 7E3003F4
	v_mov_b32_e32 v25, v248                                    // 00000000B7C0: 7E3203F8
	v_mov_b32_e32 v26, v252                                    // 00000000B7C4: 7E3403FC
	v_accvgpr_read_b32 v27, a236                               // 00000000B7C8: D3D8401B 180001EC
	v_cmp_u_f32_e64 s[38:39], v24, v24                         // 00000000B7D0: D0480026 00023118
	v_add3_u32 v28, v24, v31, 1                                // 00000000B7D8: D1FF001C 02063F18
	v_cndmask_b32_e64 v20, v28, v30, s[38:39]                  // 00000000B7E0: D1000014 009A3D1C
	v_cmp_u_f32_e64 s[38:39], v25, v25                         // 00000000B7E8: D0480026 00023319
	v_add3_u32 v28, v25, v31, 1                                // 00000000B7F0: D1FF001C 02063F19
	v_cndmask_b32_e64 v21, v28, v30, s[38:39]                  // 00000000B7F8: D1000015 009A3D1C
	v_perm_b32 v24, v21, v20, s52                              // 00000000B800: D1ED0018 00D22915
	v_cmp_u_f32_e64 s[38:39], v26, v26                         // 00000000B808: D0480026 0002351A
	v_add3_u32 v28, v26, v31, 1                                // 00000000B810: D1FF001C 02063F1A
	v_cndmask_b32_e64 v20, v28, v30, s[38:39]                  // 00000000B818: D1000014 009A3D1C
	v_cmp_u_f32_e64 s[38:39], v27, v27                         // 00000000B820: D0480026 0002371B
	v_add3_u32 v28, v27, v31, 1                                // 00000000B828: D1FF001C 02063F1B
	v_cndmask_b32_e64 v21, v28, v30, s[38:39]                  // 00000000B830: D1000015 009A3D1C
	v_perm_b32 v25, v21, v20, s52                              // 00000000B838: D1ED0019 00D22915
	ds_write_b64 v5, v[24:25]                                  // 00000000B840: D89A0000 00001805
	v_mov_b32_e32 v24, v245                                    // 00000000B848: 7E3003F5
	v_mov_b32_e32 v25, v249                                    // 00000000B84C: 7E3203F9
	v_mov_b32_e32 v26, v253                                    // 00000000B850: 7E3403FD
	v_accvgpr_read_b32 v27, a237                               // 00000000B854: D3D8401B 180001ED
	v_cmp_u_f32_e64 s[38:39], v24, v24                         // 00000000B85C: D0480026 00023118
	v_add3_u32 v28, v24, v31, 1                                // 00000000B864: D1FF001C 02063F18
	v_cndmask_b32_e64 v20, v28, v30, s[38:39]                  // 00000000B86C: D1000014 009A3D1C
	v_cmp_u_f32_e64 s[38:39], v25, v25                         // 00000000B874: D0480026 00023319
	v_add3_u32 v28, v25, v31, 1                                // 00000000B87C: D1FF001C 02063F19
	v_cndmask_b32_e64 v21, v28, v30, s[38:39]                  // 00000000B884: D1000015 009A3D1C
	v_perm_b32 v24, v21, v20, s52                              // 00000000B88C: D1ED0018 00D22915
	v_cmp_u_f32_e64 s[38:39], v26, v26                         // 00000000B894: D0480026 0002351A
	v_add3_u32 v28, v26, v31, 1                                // 00000000B89C: D1FF001C 02063F1A
	v_cndmask_b32_e64 v20, v28, v30, s[38:39]                  // 00000000B8A4: D1000014 009A3D1C
	v_cmp_u_f32_e64 s[38:39], v27, v27                         // 00000000B8AC: D0480026 0002371B
	v_add3_u32 v28, v27, v31, 1                                // 00000000B8B4: D1FF001C 02063F1B
	v_cndmask_b32_e64 v21, v28, v30, s[38:39]                  // 00000000B8BC: D1000015 009A3D1C
	v_perm_b32 v25, v21, v20, s52                              // 00000000B8C4: D1ED0019 00D22915
	ds_write_b64 v5, v[24:25] offset:1152                      // 00000000B8CC: D89A0480 00001805
	v_mov_b32_e32 v24, v246                                    // 00000000B8D4: 7E3003F6
	v_mov_b32_e32 v25, v250                                    // 00000000B8D8: 7E3203FA
	v_mov_b32_e32 v26, v254                                    // 00000000B8DC: 7E3403FE
	v_accvgpr_read_b32 v27, a238                               // 00000000B8E0: D3D8401B 180001EE
	v_cmp_u_f32_e64 s[38:39], v24, v24                         // 00000000B8E8: D0480026 00023118
	v_add3_u32 v28, v24, v31, 1                                // 00000000B8F0: D1FF001C 02063F18
	v_cndmask_b32_e64 v20, v28, v30, s[38:39]                  // 00000000B8F8: D1000014 009A3D1C
	v_cmp_u_f32_e64 s[38:39], v25, v25                         // 00000000B900: D0480026 00023319
	v_add3_u32 v28, v25, v31, 1                                // 00000000B908: D1FF001C 02063F19
	v_cndmask_b32_e64 v21, v28, v30, s[38:39]                  // 00000000B910: D1000015 009A3D1C
	v_perm_b32 v24, v21, v20, s52                              // 00000000B918: D1ED0018 00D22915
	v_cmp_u_f32_e64 s[38:39], v26, v26                         // 00000000B920: D0480026 0002351A
	v_add3_u32 v28, v26, v31, 1                                // 00000000B928: D1FF001C 02063F1A
	v_cndmask_b32_e64 v20, v28, v30, s[38:39]                  // 00000000B930: D1000014 009A3D1C
	v_cmp_u_f32_e64 s[38:39], v27, v27                         // 00000000B938: D0480026 0002371B
	v_add3_u32 v28, v27, v31, 1                                // 00000000B940: D1FF001C 02063F1B
	v_cndmask_b32_e64 v21, v28, v30, s[38:39]                  // 00000000B948: D1000015 009A3D1C
	v_perm_b32 v25, v21, v20, s52                              // 00000000B950: D1ED0019 00D22915
	ds_write_b64 v5, v[24:25] offset:144                       // 00000000B958: D89A0090 00001805
	v_mov_b32_e32 v24, v247                                    // 00000000B960: 7E3003F7
	v_mov_b32_e32 v25, v251                                    // 00000000B964: 7E3203FB
	v_mov_b32_e32 v26, v255                                    // 00000000B968: 7E3403FF
	v_accvgpr_read_b32 v27, a239                               // 00000000B96C: D3D8401B 180001EF
	v_cmp_u_f32_e64 s[38:39], v24, v24                         // 00000000B974: D0480026 00023118
	v_add3_u32 v28, v24, v31, 1                                // 00000000B97C: D1FF001C 02063F18
	v_cndmask_b32_e64 v20, v28, v30, s[38:39]                  // 00000000B984: D1000014 009A3D1C
	v_cmp_u_f32_e64 s[38:39], v25, v25                         // 00000000B98C: D0480026 00023319
	v_add3_u32 v28, v25, v31, 1                                // 00000000B994: D1FF001C 02063F19
	v_cndmask_b32_e64 v21, v28, v30, s[38:39]                  // 00000000B99C: D1000015 009A3D1C
	v_perm_b32 v24, v21, v20, s52                              // 00000000B9A4: D1ED0018 00D22915
	v_cmp_u_f32_e64 s[38:39], v26, v26                         // 00000000B9AC: D0480026 0002351A
	v_add3_u32 v28, v26, v31, 1                                // 00000000B9B4: D1FF001C 02063F1A
	v_cndmask_b32_e64 v20, v28, v30, s[38:39]                  // 00000000B9BC: D1000014 009A3D1C
	v_cmp_u_f32_e64 s[38:39], v27, v27                         // 00000000B9C4: D0480026 0002371B
	v_add3_u32 v28, v27, v31, 1                                // 00000000B9CC: D1FF001C 02063F1B
	v_cndmask_b32_e64 v21, v28, v30, s[38:39]                  // 00000000B9D4: D1000015 009A3D1C
	v_perm_b32 v25, v21, v20, s52                              // 00000000B9DC: D1ED0019 00D22915
	ds_write_b64 v5, v[24:25] offset:1296                      // 00000000B9E4: D89A0510 00001805
	v_accvgpr_read_b32 v24, a240                               // 00000000B9EC: D3D84018 180001F0
	v_accvgpr_read_b32 v25, a244                               // 00000000B9F4: D3D84019 180001F4
	v_accvgpr_read_b32 v26, a248                               // 00000000B9FC: D3D8401A 180001F8
	v_accvgpr_read_b32 v27, a252                               // 00000000BA04: D3D8401B 180001FC
	v_cmp_u_f32_e64 s[38:39], v24, v24                         // 00000000BA0C: D0480026 00023118
	v_add3_u32 v28, v24, v31, 1                                // 00000000BA14: D1FF001C 02063F18
	v_cndmask_b32_e64 v20, v28, v30, s[38:39]                  // 00000000BA1C: D1000014 009A3D1C
	v_cmp_u_f32_e64 s[38:39], v25, v25                         // 00000000BA24: D0480026 00023319
	v_add3_u32 v28, v25, v31, 1                                // 00000000BA2C: D1FF001C 02063F19
	v_cndmask_b32_e64 v21, v28, v30, s[38:39]                  // 00000000BA34: D1000015 009A3D1C
	v_perm_b32 v24, v21, v20, s52                              // 00000000BA3C: D1ED0018 00D22915
	v_cmp_u_f32_e64 s[38:39], v26, v26                         // 00000000BA44: D0480026 0002351A
	v_add3_u32 v28, v26, v31, 1                                // 00000000BA4C: D1FF001C 02063F1A
	v_cndmask_b32_e64 v20, v28, v30, s[38:39]                  // 00000000BA54: D1000014 009A3D1C
	v_cmp_u_f32_e64 s[38:39], v27, v27                         // 00000000BA5C: D0480026 0002371B
	v_add3_u32 v28, v27, v31, 1                                // 00000000BA64: D1FF001C 02063F1B
	v_cndmask_b32_e64 v21, v28, v30, s[38:39]                  // 00000000BA6C: D1000015 009A3D1C
	v_perm_b32 v25, v21, v20, s52                              // 00000000BA74: D1ED0019 00D22915
	ds_write_b64 v5, v[24:25] offset:2304                      // 00000000BA7C: D89A0900 00001805
	v_accvgpr_read_b32 v24, a241                               // 00000000BA84: D3D84018 180001F1
	v_accvgpr_read_b32 v25, a245                               // 00000000BA8C: D3D84019 180001F5
	v_accvgpr_read_b32 v26, a249                               // 00000000BA94: D3D8401A 180001F9
	v_accvgpr_read_b32 v27, a253                               // 00000000BA9C: D3D8401B 180001FD
	v_cmp_u_f32_e64 s[38:39], v24, v24                         // 00000000BAA4: D0480026 00023118
	v_add3_u32 v28, v24, v31, 1                                // 00000000BAAC: D1FF001C 02063F18
	v_cndmask_b32_e64 v20, v28, v30, s[38:39]                  // 00000000BAB4: D1000014 009A3D1C
	v_cmp_u_f32_e64 s[38:39], v25, v25                         // 00000000BABC: D0480026 00023319
	v_add3_u32 v28, v25, v31, 1                                // 00000000BAC4: D1FF001C 02063F19
	v_cndmask_b32_e64 v21, v28, v30, s[38:39]                  // 00000000BACC: D1000015 009A3D1C
	v_perm_b32 v24, v21, v20, s52                              // 00000000BAD4: D1ED0018 00D22915
	v_cmp_u_f32_e64 s[38:39], v26, v26                         // 00000000BADC: D0480026 0002351A
	v_add3_u32 v28, v26, v31, 1                                // 00000000BAE4: D1FF001C 02063F1A
	v_cndmask_b32_e64 v20, v28, v30, s[38:39]                  // 00000000BAEC: D1000014 009A3D1C
	v_cmp_u_f32_e64 s[38:39], v27, v27                         // 00000000BAF4: D0480026 0002371B
	v_add3_u32 v28, v27, v31, 1                                // 00000000BAFC: D1FF001C 02063F1B
	v_cndmask_b32_e64 v21, v28, v30, s[38:39]                  // 00000000BB04: D1000015 009A3D1C
	v_perm_b32 v25, v21, v20, s52                              // 00000000BB0C: D1ED0019 00D22915
	ds_write_b64 v5, v[24:25] offset:3456                      // 00000000BB14: D89A0D80 00001805
	v_accvgpr_read_b32 v24, a242                               // 00000000BB1C: D3D84018 180001F2
	v_accvgpr_read_b32 v25, a246                               // 00000000BB24: D3D84019 180001F6
	v_accvgpr_read_b32 v26, a250                               // 00000000BB2C: D3D8401A 180001FA
	v_accvgpr_read_b32 v27, a254                               // 00000000BB34: D3D8401B 180001FE
	v_cmp_u_f32_e64 s[38:39], v24, v24                         // 00000000BB3C: D0480026 00023118
	v_add3_u32 v28, v24, v31, 1                                // 00000000BB44: D1FF001C 02063F18
	v_cndmask_b32_e64 v20, v28, v30, s[38:39]                  // 00000000BB4C: D1000014 009A3D1C
	v_cmp_u_f32_e64 s[38:39], v25, v25                         // 00000000BB54: D0480026 00023319
	v_add3_u32 v28, v25, v31, 1                                // 00000000BB5C: D1FF001C 02063F19
	v_cndmask_b32_e64 v21, v28, v30, s[38:39]                  // 00000000BB64: D1000015 009A3D1C
	v_perm_b32 v24, v21, v20, s52                              // 00000000BB6C: D1ED0018 00D22915
	v_cmp_u_f32_e64 s[38:39], v26, v26                         // 00000000BB74: D0480026 0002351A
	v_add3_u32 v28, v26, v31, 1                                // 00000000BB7C: D1FF001C 02063F1A
	v_cndmask_b32_e64 v20, v28, v30, s[38:39]                  // 00000000BB84: D1000014 009A3D1C
	v_cmp_u_f32_e64 s[38:39], v27, v27                         // 00000000BB8C: D0480026 0002371B
	v_add3_u32 v28, v27, v31, 1                                // 00000000BB94: D1FF001C 02063F1B
	v_cndmask_b32_e64 v21, v28, v30, s[38:39]                  // 00000000BB9C: D1000015 009A3D1C
	v_perm_b32 v25, v21, v20, s52                              // 00000000BBA4: D1ED0019 00D22915
	ds_write_b64 v5, v[24:25] offset:2448                      // 00000000BBAC: D89A0990 00001805
	v_accvgpr_read_b32 v24, a243                               // 00000000BBB4: D3D84018 180001F3
	v_accvgpr_read_b32 v25, a247                               // 00000000BBBC: D3D84019 180001F7
	v_accvgpr_read_b32 v26, a251                               // 00000000BBC4: D3D8401A 180001FB
	v_accvgpr_read_b32 v27, a255                               // 00000000BBCC: D3D8401B 180001FF
	v_cmp_u_f32_e64 s[38:39], v24, v24                         // 00000000BBD4: D0480026 00023118
	v_add3_u32 v28, v24, v31, 1                                // 00000000BBDC: D1FF001C 02063F18
	v_cndmask_b32_e64 v20, v28, v30, s[38:39]                  // 00000000BBE4: D1000014 009A3D1C
	v_cmp_u_f32_e64 s[38:39], v25, v25                         // 00000000BBEC: D0480026 00023319
	v_add3_u32 v28, v25, v31, 1                                // 00000000BBF4: D1FF001C 02063F19
	v_cndmask_b32_e64 v21, v28, v30, s[38:39]                  // 00000000BBFC: D1000015 009A3D1C
	v_perm_b32 v24, v21, v20, s52                              // 00000000BC04: D1ED0018 00D22915
	v_cmp_u_f32_e64 s[38:39], v26, v26                         // 00000000BC0C: D0480026 0002351A
	v_add3_u32 v28, v26, v31, 1                                // 00000000BC14: D1FF001C 02063F1A
	v_cndmask_b32_e64 v20, v28, v30, s[38:39]                  // 00000000BC1C: D1000014 009A3D1C
	v_cmp_u_f32_e64 s[38:39], v27, v27                         // 00000000BC24: D0480026 0002371B
	v_add3_u32 v28, v27, v31, 1                                // 00000000BC2C: D1FF001C 02063F1B
	v_cndmask_b32_e64 v21, v28, v30, s[38:39]                  // 00000000BC34: D1000015 009A3D1C
	v_perm_b32 v25, v21, v20, s52                              // 00000000BC3C: D1ED0019 00D22915
	ds_write_b64 v5, v[24:25] offset:3600                      // 00000000BC44: D89A0E10 00001805
	s_waitcnt lgkmcnt(4)                                       // 00000000BC4C: BF8CC47F
	ds_read_b64 v[40:41], v4                                   // 00000000BC50: D8EC0000 28000004
	ds_read_b64 v[44:45], v4 offset:64                         // 00000000BC58: D8EC0040 2C000004
	ds_read_b64 v[42:43], v4 offset:1152                       // 00000000BC60: D8EC0480 2A000004
	ds_read_b64 v[46:47], v4 offset:1216                       // 00000000BC68: D8EC04C0 2E000004
	s_waitcnt lgkmcnt(4)                                       // 00000000BC70: BF8CC47F
	ds_read_b64 v[48:49], v4 offset:2304                       // 00000000BC74: D8EC0900 30000004
	ds_read_b64 v[52:53], v4 offset:2368                       // 00000000BC7C: D8EC0940 34000004
	ds_read_b64 v[50:51], v4 offset:3456                       // 00000000BC84: D8EC0D80 32000004
	ds_read_b64 v[54:55], v4 offset:3520                       // 00000000BC8C: D8EC0DC0 36000004
	s_waitcnt lgkmcnt(0)                                       // 00000000BC94: BF8CC07F
	v_mov_b32_e32 v18, v19                                     // 00000000BC98: 7E240313
	buffer_store_dwordx4 v[40:43], v18, s[8:11], 0 offen offset:768// 00000000BC9C: E07C1300 80022812
	buffer_store_dwordx4 v[48:51], v18, s[8:11], 0 offen offset:896// 00000000BCA4: E07C1380 80023012
	v_add_u32_e32 v18, 0x2000, v18                             // 00000000BCAC: 682424FF 00002000
	buffer_store_dwordx4 v[44:47], v18, s[8:11], 0 offen offset:768// 00000000BCB4: E07C1300 80022C12
	buffer_store_dwordx4 v[52:55], v18, s[8:11], 0 offen offset:896// 00000000BCBC: E07C1380 80023412
	v_add_u32_e32 v18, 0x2000, v18                             // 00000000BCC4: 682424FF 00002000
	s_branch label_2E93                                        // 00000000BCCC: BF82035F

000000000000bcd0 <label_2B34>:
	s_mul_i32 s76, s67, s75                                    // 00000000BCD0: 924C4B43
	s_add_u32 s56, s80, s79                                    // 00000000BCD4: 80384F50
	v_mov_b32_e32 v20, s56                                     // 00000000BCD8: 7E280238
	v_mul_lo_u32 v21, s76, v20                                 // 00000000BCDC: D2850015 0002284C
	v_mul_hi_u32 v22, s76, v20                                 // 00000000BCE4: D2860016 0002284C
	s_nop 2                                                    // 00000000BCEC: BF800002
	v_readfirstlane_b32 s56, v21                               // 00000000BCF0: 7E700515
	v_readfirstlane_b32 s57, v22                               // 00000000BCF4: 7E720516
	s_nop 4                                                    // 00000000BCF8: BF800004
	s_add_u32 s8, s56, s8                                      // 00000000BCFC: 80080838
	s_addc_u32 s9, s57, s9                                     // 00000000BD00: 82090939
	s_sub_u32 s56, s81, s80                                    // 00000000BD04: 80B85051
	s_mul_i32 s56, s56, s76                                    // 00000000BD08: 92384C38
	s_mov_b32 s10, s56                                         // 00000000BD0C: BE8A0038
	v_and_b32_e32 v20, 15, v0                                  // 00000000BD10: 2628008F
	v_lshlrev_b32_e32 v18, 4, v20                              // 00000000BD14: 24242884
	v_lshrrev_b32_e32 v20, 4, v0                               // 00000000BD18: 20280084
	v_mul_i32_i24_e32 v20, 0x800, v20                          // 00000000BD1C: 0C2828FF 00000800
	v_add_u32_e32 v18, v18, v20                                // 00000000BD24: 68242912
	s_mul_i32 s56, s4, s75                                     // 00000000BD28: 92384B04
	v_add_u32_e64 v18, v18, s56                                // 00000000BD2C: D1340012 00007112
	s_mul_i32 s56, s7, 0x8000                                  // 00000000BD34: 9238FF07 00008000
	v_add_u32_e64 v18, v18, s56                                // 00000000BD3C: D1340012 00007112
	v_mov_b32_e32 v19, v18                                     // 00000000BD44: 7E260312
	s_mul_i32 s58, 4, s65                                      // 00000000BD48: 923A4184
	s_mul_i32 s77, s67, s58                                    // 00000000BD4C: 924D3A43
	s_add_u32 s56, s80, s79                                    // 00000000BD50: 80384F50
	s_mul_i32 s56, s56, s77                                    // 00000000BD54: 92384D38
	s_add_u32 s12, s56, s12                                    // 00000000BD58: 800C0C38
	s_addc_u32 s13, 0, s13                                     // 00000000BD5C: 820D0D80
	s_sub_u32 s56, s81, s80                                    // 00000000BD60: 80B85051
	s_mul_i32 s56, s56, s77                                    // 00000000BD64: 92384D38
	s_mov_b32 s14, s56                                         // 00000000BD68: BE8E0038
	v_and_b32_e32 v26, 15, v0                                  // 00000000BD6C: 2634008F
	v_lshlrev_b32_e32 v26, 2, v26                              // 00000000BD70: 24343482
	s_mul_i32 s56, s4, s58                                     // 00000000BD74: 92383A04
	v_add_u32_e64 v26, v26, s56                                // 00000000BD78: D134001A 0000711A
	s_mul_i32 s56, s7, 64                                      // 00000000BD80: 9238C007
	v_add_u32_e64 v26, v26, s56                                // 00000000BD84: D134001A 0000711A
	s_waitcnt vmcnt(0) lgkmcnt(0)                              // 00000000BD8C: BF8C0070
	s_barrier                                                  // 00000000BD90: BF8A0000
	v_lshlrev_b32_e32 v5, 2, v0                                // 00000000BD94: 240A0082
	s_mul_i32 s56, s7, 0x840                                   // 00000000BD98: 9238FF07 00000840
	v_add_u32_e32 v5, s56, v5                                  // 00000000BDA0: 680A0A38
	v_lshlrev_b32_e32 v5, 2, v5                                // 00000000BDA4: 240A0A82
	v_lshrrev_b32_e32 v20, 4, v0                               // 00000000BDA8: 20280084
	v_mul_i32_i24_e32 v4, 4, v20                               // 00000000BDAC: 0C082884
	v_and_b32_e32 v20, 3, v0                                   // 00000000BDB0: 26280083
	v_mul_i32_i24_e32 v20, 0x108, v20                          // 00000000BDB4: 0C2828FF 00000108
	v_add_u32_e32 v4, v20, v4                                  // 00000000BDBC: 68080914
	v_and_b32_e32 v20, 15, v0                                  // 00000000BDC0: 2628008F
	v_lshrrev_b32_e32 v20, 2, v20                              // 00000000BDC4: 20282882
	v_mul_i32_i24_e32 v20, 64, v20                             // 00000000BDC8: 0C2828C0
	v_add_u32_e32 v4, v20, v4                                  // 00000000BDCC: 68080914
	s_mul_i32 s56, s7, 0x840                                   // 00000000BDD0: 9238FF07 00000840
	v_add_u32_e32 v4, s56, v4                                  // 00000000BDD8: 68080838
	v_lshlrev_b32_e32 v4, 2, v4                                // 00000000BDDC: 24080882
	s_mov_b32 s56, 0                                           // 00000000BDE0: BEB80080
	v_add_u32_e64 v19, v19, s56                                // 00000000BDE4: D1340013 00007113
	v_mov_b32_e32 v20, v40                                     // 00000000BDEC: 7E280328
	v_mov_b32_e32 v21, v44                                     // 00000000BDF0: 7E2A032C
	v_mov_b32_e32 v22, v48                                     // 00000000BDF4: 7E2C0330
	v_mov_b32_e32 v23, v52                                     // 00000000BDF8: 7E2E0334
	ds_write_b128 v5, v[20:23]                                 // 00000000BDFC: D9BE0000 00001405
	v_mov_b32_e32 v20, v41                                     // 00000000BE04: 7E280329
	v_mov_b32_e32 v21, v45                                     // 00000000BE08: 7E2A032D
	v_mov_b32_e32 v22, v49                                     // 00000000BE0C: 7E2C0331
	v_mov_b32_e32 v23, v53                                     // 00000000BE10: 7E2E0335
	ds_write_b128 v5, v[20:23] offset:1056                     // 00000000BE14: D9BE0420 00001405
	v_mov_b32_e32 v20, v42                                     // 00000000BE1C: 7E28032A
	v_mov_b32_e32 v21, v46                                     // 00000000BE20: 7E2A032E
	v_mov_b32_e32 v22, v50                                     // 00000000BE24: 7E2C0332
	v_mov_b32_e32 v23, v54                                     // 00000000BE28: 7E2E0336
	ds_write_b128 v5, v[20:23] offset:2112                     // 00000000BE2C: D9BE0840 00001405
	v_mov_b32_e32 v20, v43                                     // 00000000BE34: 7E28032B
	v_mov_b32_e32 v21, v47                                     // 00000000BE38: 7E2A032F
	v_mov_b32_e32 v22, v51                                     // 00000000BE3C: 7E2C0333
	v_mov_b32_e32 v23, v55                                     // 00000000BE40: 7E2E0337
	ds_write_b128 v5, v[20:23] offset:3168                     // 00000000BE44: D9BE0C60 00001405
	v_mov_b32_e32 v20, v56                                     // 00000000BE4C: 7E280338
	v_mov_b32_e32 v21, v60                                     // 00000000BE50: 7E2A033C
	v_mov_b32_e32 v22, v64                                     // 00000000BE54: 7E2C0340
	v_mov_b32_e32 v23, v68                                     // 00000000BE58: 7E2E0344
	ds_write_b128 v5, v[20:23] offset:4224                     // 00000000BE5C: D9BE1080 00001405
	v_mov_b32_e32 v20, v57                                     // 00000000BE64: 7E280339
	v_mov_b32_e32 v21, v61                                     // 00000000BE68: 7E2A033D
	v_mov_b32_e32 v22, v65                                     // 00000000BE6C: 7E2C0341
	v_mov_b32_e32 v23, v69                                     // 00000000BE70: 7E2E0345
	ds_write_b128 v5, v[20:23] offset:5280                     // 00000000BE74: D9BE14A0 00001405
	v_mov_b32_e32 v20, v58                                     // 00000000BE7C: 7E28033A
	v_mov_b32_e32 v21, v62                                     // 00000000BE80: 7E2A033E
	v_mov_b32_e32 v22, v66                                     // 00000000BE84: 7E2C0342
	v_mov_b32_e32 v23, v70                                     // 00000000BE88: 7E2E0346
	ds_write_b128 v5, v[20:23] offset:6336                     // 00000000BE8C: D9BE18C0 00001405
	v_mov_b32_e32 v20, v59                                     // 00000000BE94: 7E28033B
	v_mov_b32_e32 v21, v63                                     // 00000000BE98: 7E2A033F
	v_mov_b32_e32 v22, v67                                     // 00000000BE9C: 7E2C0343
	v_mov_b32_e32 v23, v71                                     // 00000000BEA0: 7E2E0347
	ds_write_b128 v5, v[20:23] offset:7392                     // 00000000BEA4: D9BE1CE0 00001405
	s_waitcnt lgkmcnt(4)                                       // 00000000BEAC: BF8CC47F
	ds_read_b128 v[40:43], v4                                  // 00000000BEB0: D9FE0000 28000004
	ds_read_b128 v[44:47], v4 offset:64                        // 00000000BEB8: D9FE0040 2C000004
	ds_read_b128 v[48:51], v4 offset:128                       // 00000000BEC0: D9FE0080 30000004
	ds_read_b128 v[52:55], v4 offset:192                       // 00000000BEC8: D9FE00C0 34000004
	s_waitcnt lgkmcnt(4)                                       // 00000000BED0: BF8CC47F
	ds_read_b128 v[56:59], v4 offset:4224                      // 00000000BED4: D9FE1080 38000004
	ds_read_b128 v[60:63], v4 offset:4288                      // 00000000BEDC: D9FE10C0 3C000004
	ds_read_b128 v[64:67], v4 offset:4352                      // 00000000BEE4: D9FE1100 40000004
	ds_read_b128 v[68:71], v4 offset:4416                      // 00000000BEEC: D9FE1140 44000004
	s_waitcnt lgkmcnt(0)                                       // 00000000BEF4: BF8CC07F
	v_mov_b32_e32 v18, v19                                     // 00000000BEF8: 7E240313
	buffer_store_dwordx4 v[40:43], v18, s[8:11], 0 offen       // 00000000BEFC: E07C1000 80022812
	buffer_store_dwordx4 v[56:59], v18, s[8:11], 0 offen offset:256// 00000000BF04: E07C1100 80023812
	v_add_u32_e32 v18, 0x2000, v18                             // 00000000BF0C: 682424FF 00002000
	buffer_store_dwordx4 v[44:47], v18, s[8:11], 0 offen       // 00000000BF14: E07C1000 80022C12
	buffer_store_dwordx4 v[60:63], v18, s[8:11], 0 offen offset:256// 00000000BF1C: E07C1100 80023C12
	v_add_u32_e32 v18, 0x2000, v18                             // 00000000BF24: 682424FF 00002000
	buffer_store_dwordx4 v[48:51], v18, s[8:11], 0 offen       // 00000000BF2C: E07C1000 80023012
	buffer_store_dwordx4 v[64:67], v18, s[8:11], 0 offen offset:256// 00000000BF34: E07C1100 80024012
	v_add_u32_e32 v18, 0x2000, v18                             // 00000000BF3C: 682424FF 00002000
	buffer_store_dwordx4 v[52:55], v18, s[8:11], 0 offen       // 00000000BF44: E07C1000 80023412
	buffer_store_dwordx4 v[68:71], v18, s[8:11], 0 offen offset:256// 00000000BF4C: E07C1100 80024412
	v_add_u32_e32 v18, 0x2000, v18                             // 00000000BF54: 682424FF 00002000
	v_mov_b32_e32 v20, v72                                     // 00000000BF5C: 7E280348
	v_mov_b32_e32 v21, v76                                     // 00000000BF60: 7E2A034C
	v_mov_b32_e32 v22, v80                                     // 00000000BF64: 7E2C0350
	v_mov_b32_e32 v23, v84                                     // 00000000BF68: 7E2E0354
	ds_write_b128 v5, v[20:23]                                 // 00000000BF6C: D9BE0000 00001405
	v_mov_b32_e32 v20, v73                                     // 00000000BF74: 7E280349
	v_mov_b32_e32 v21, v77                                     // 00000000BF78: 7E2A034D
	v_mov_b32_e32 v22, v81                                     // 00000000BF7C: 7E2C0351
	v_mov_b32_e32 v23, v85                                     // 00000000BF80: 7E2E0355
	ds_write_b128 v5, v[20:23] offset:1056                     // 00000000BF84: D9BE0420 00001405
	v_mov_b32_e32 v20, v74                                     // 00000000BF8C: 7E28034A
	v_mov_b32_e32 v21, v78                                     // 00000000BF90: 7E2A034E
	v_mov_b32_e32 v22, v82                                     // 00000000BF94: 7E2C0352
	v_mov_b32_e32 v23, v86                                     // 00000000BF98: 7E2E0356
	ds_write_b128 v5, v[20:23] offset:2112                     // 00000000BF9C: D9BE0840 00001405
	v_mov_b32_e32 v20, v75                                     // 00000000BFA4: 7E28034B
	v_mov_b32_e32 v21, v79                                     // 00000000BFA8: 7E2A034F
	v_mov_b32_e32 v22, v83                                     // 00000000BFAC: 7E2C0353
	v_mov_b32_e32 v23, v87                                     // 00000000BFB0: 7E2E0357
	ds_write_b128 v5, v[20:23] offset:3168                     // 00000000BFB4: D9BE0C60 00001405
	v_mov_b32_e32 v20, v88                                     // 00000000BFBC: 7E280358
	v_mov_b32_e32 v21, v92                                     // 00000000BFC0: 7E2A035C
	v_mov_b32_e32 v22, v96                                     // 00000000BFC4: 7E2C0360
	v_mov_b32_e32 v23, v100                                    // 00000000BFC8: 7E2E0364
	ds_write_b128 v5, v[20:23] offset:4224                     // 00000000BFCC: D9BE1080 00001405
	v_mov_b32_e32 v20, v89                                     // 00000000BFD4: 7E280359
	v_mov_b32_e32 v21, v93                                     // 00000000BFD8: 7E2A035D
	v_mov_b32_e32 v22, v97                                     // 00000000BFDC: 7E2C0361
	v_mov_b32_e32 v23, v101                                    // 00000000BFE0: 7E2E0365
	ds_write_b128 v5, v[20:23] offset:5280                     // 00000000BFE4: D9BE14A0 00001405
	v_mov_b32_e32 v20, v90                                     // 00000000BFEC: 7E28035A
	v_mov_b32_e32 v21, v94                                     // 00000000BFF0: 7E2A035E
	v_mov_b32_e32 v22, v98                                     // 00000000BFF4: 7E2C0362
	v_mov_b32_e32 v23, v102                                    // 00000000BFF8: 7E2E0366
	ds_write_b128 v5, v[20:23] offset:6336                     // 00000000BFFC: D9BE18C0 00001405
	v_mov_b32_e32 v20, v91                                     // 00000000C004: 7E28035B
	v_mov_b32_e32 v21, v95                                     // 00000000C008: 7E2A035F
	v_mov_b32_e32 v22, v99                                     // 00000000C00C: 7E2C0363
	v_mov_b32_e32 v23, v103                                    // 00000000C010: 7E2E0367
	ds_write_b128 v5, v[20:23] offset:7392                     // 00000000C014: D9BE1CE0 00001405
	s_waitcnt lgkmcnt(4)                                       // 00000000C01C: BF8CC47F
	ds_read_b128 v[40:43], v4                                  // 00000000C020: D9FE0000 28000004
	ds_read_b128 v[44:47], v4 offset:64                        // 00000000C028: D9FE0040 2C000004
	ds_read_b128 v[48:51], v4 offset:128                       // 00000000C030: D9FE0080 30000004
	ds_read_b128 v[52:55], v4 offset:192                       // 00000000C038: D9FE00C0 34000004
	s_waitcnt lgkmcnt(4)                                       // 00000000C040: BF8CC47F
	ds_read_b128 v[56:59], v4 offset:4224                      // 00000000C044: D9FE1080 38000004
	ds_read_b128 v[60:63], v4 offset:4288                      // 00000000C04C: D9FE10C0 3C000004
	ds_read_b128 v[64:67], v4 offset:4352                      // 00000000C054: D9FE1100 40000004
	ds_read_b128 v[68:71], v4 offset:4416                      // 00000000C05C: D9FE1140 44000004
	s_waitcnt lgkmcnt(0)                                       // 00000000C064: BF8CC07F
	v_mov_b32_e32 v18, v19                                     // 00000000C068: 7E240313
	buffer_store_dwordx4 v[40:43], v18, s[8:11], 0 offen offset:512// 00000000C06C: E07C1200 80022812
	buffer_store_dwordx4 v[56:59], v18, s[8:11], 0 offen offset:768// 00000000C074: E07C1300 80023812
	v_add_u32_e32 v18, 0x2000, v18                             // 00000000C07C: 682424FF 00002000
	buffer_store_dwordx4 v[44:47], v18, s[8:11], 0 offen offset:512// 00000000C084: E07C1200 80022C12
	buffer_store_dwordx4 v[60:63], v18, s[8:11], 0 offen offset:768// 00000000C08C: E07C1300 80023C12
	v_add_u32_e32 v18, 0x2000, v18                             // 00000000C094: 682424FF 00002000
	buffer_store_dwordx4 v[48:51], v18, s[8:11], 0 offen offset:512// 00000000C09C: E07C1200 80023012
	buffer_store_dwordx4 v[64:67], v18, s[8:11], 0 offen offset:768// 00000000C0A4: E07C1300 80024012
	v_add_u32_e32 v18, 0x2000, v18                             // 00000000C0AC: 682424FF 00002000
	buffer_store_dwordx4 v[52:55], v18, s[8:11], 0 offen offset:512// 00000000C0B4: E07C1200 80023412
	buffer_store_dwordx4 v[68:71], v18, s[8:11], 0 offen offset:768// 00000000C0BC: E07C1300 80024412
	v_add_u32_e32 v18, 0x2000, v18                             // 00000000C0C4: 682424FF 00002000
	v_mov_b32_e32 v20, v104                                    // 00000000C0CC: 7E280368
	v_mov_b32_e32 v21, v108                                    // 00000000C0D0: 7E2A036C
	v_mov_b32_e32 v22, v112                                    // 00000000C0D4: 7E2C0370
	v_mov_b32_e32 v23, v116                                    // 00000000C0D8: 7E2E0374
	ds_write_b128 v5, v[20:23]                                 // 00000000C0DC: D9BE0000 00001405
	v_mov_b32_e32 v20, v105                                    // 00000000C0E4: 7E280369
	v_mov_b32_e32 v21, v109                                    // 00000000C0E8: 7E2A036D
	v_mov_b32_e32 v22, v113                                    // 00000000C0EC: 7E2C0371
	v_mov_b32_e32 v23, v117                                    // 00000000C0F0: 7E2E0375
	ds_write_b128 v5, v[20:23] offset:1056                     // 00000000C0F4: D9BE0420 00001405
	v_mov_b32_e32 v20, v106                                    // 00000000C0FC: 7E28036A
	v_mov_b32_e32 v21, v110                                    // 00000000C100: 7E2A036E
	v_mov_b32_e32 v22, v114                                    // 00000000C104: 7E2C0372
	v_mov_b32_e32 v23, v118                                    // 00000000C108: 7E2E0376
	ds_write_b128 v5, v[20:23] offset:2112                     // 00000000C10C: D9BE0840 00001405
	v_mov_b32_e32 v20, v107                                    // 00000000C114: 7E28036B
	v_mov_b32_e32 v21, v111                                    // 00000000C118: 7E2A036F
	v_mov_b32_e32 v22, v115                                    // 00000000C11C: 7E2C0373
	v_mov_b32_e32 v23, v119                                    // 00000000C120: 7E2E0377
	ds_write_b128 v5, v[20:23] offset:3168                     // 00000000C124: D9BE0C60 00001405
	v_mov_b32_e32 v20, v120                                    // 00000000C12C: 7E280378
	v_mov_b32_e32 v21, v124                                    // 00000000C130: 7E2A037C
	v_mov_b32_e32 v22, v128                                    // 00000000C134: 7E2C0380
	v_mov_b32_e32 v23, v132                                    // 00000000C138: 7E2E0384
	ds_write_b128 v5, v[20:23] offset:4224                     // 00000000C13C: D9BE1080 00001405
	v_mov_b32_e32 v20, v121                                    // 00000000C144: 7E280379
	v_mov_b32_e32 v21, v125                                    // 00000000C148: 7E2A037D
	v_mov_b32_e32 v22, v129                                    // 00000000C14C: 7E2C0381
	v_mov_b32_e32 v23, v133                                    // 00000000C150: 7E2E0385
	ds_write_b128 v5, v[20:23] offset:5280                     // 00000000C154: D9BE14A0 00001405
	v_mov_b32_e32 v20, v122                                    // 00000000C15C: 7E28037A
	v_mov_b32_e32 v21, v126                                    // 00000000C160: 7E2A037E
	v_mov_b32_e32 v22, v130                                    // 00000000C164: 7E2C0382
	v_mov_b32_e32 v23, v134                                    // 00000000C168: 7E2E0386
	ds_write_b128 v5, v[20:23] offset:6336                     // 00000000C16C: D9BE18C0 00001405
	v_mov_b32_e32 v20, v123                                    // 00000000C174: 7E28037B
	v_mov_b32_e32 v21, v127                                    // 00000000C178: 7E2A037F
	v_mov_b32_e32 v22, v131                                    // 00000000C17C: 7E2C0383
	v_mov_b32_e32 v23, v135                                    // 00000000C180: 7E2E0387
	ds_write_b128 v5, v[20:23] offset:7392                     // 00000000C184: D9BE1CE0 00001405
	s_waitcnt lgkmcnt(4)                                       // 00000000C18C: BF8CC47F
	ds_read_b128 v[40:43], v4                                  // 00000000C190: D9FE0000 28000004
	ds_read_b128 v[44:47], v4 offset:64                        // 00000000C198: D9FE0040 2C000004
	ds_read_b128 v[48:51], v4 offset:128                       // 00000000C1A0: D9FE0080 30000004
	ds_read_b128 v[52:55], v4 offset:192                       // 00000000C1A8: D9FE00C0 34000004
	s_waitcnt lgkmcnt(4)                                       // 00000000C1B0: BF8CC47F
	ds_read_b128 v[56:59], v4 offset:4224                      // 00000000C1B4: D9FE1080 38000004
	ds_read_b128 v[60:63], v4 offset:4288                      // 00000000C1BC: D9FE10C0 3C000004
	ds_read_b128 v[64:67], v4 offset:4352                      // 00000000C1C4: D9FE1100 40000004
	ds_read_b128 v[68:71], v4 offset:4416                      // 00000000C1CC: D9FE1140 44000004
	s_waitcnt lgkmcnt(0)                                       // 00000000C1D4: BF8CC07F
	v_mov_b32_e32 v18, v19                                     // 00000000C1D8: 7E240313
	buffer_store_dwordx4 v[40:43], v18, s[8:11], 0 offen offset:1024// 00000000C1DC: E07C1400 80022812
	buffer_store_dwordx4 v[56:59], v18, s[8:11], 0 offen offset:1280// 00000000C1E4: E07C1500 80023812
	v_add_u32_e32 v18, 0x2000, v18                             // 00000000C1EC: 682424FF 00002000
	buffer_store_dwordx4 v[44:47], v18, s[8:11], 0 offen offset:1024// 00000000C1F4: E07C1400 80022C12
	buffer_store_dwordx4 v[60:63], v18, s[8:11], 0 offen offset:1280// 00000000C1FC: E07C1500 80023C12
	v_add_u32_e32 v18, 0x2000, v18                             // 00000000C204: 682424FF 00002000
	buffer_store_dwordx4 v[48:51], v18, s[8:11], 0 offen offset:1024// 00000000C20C: E07C1400 80023012
	buffer_store_dwordx4 v[64:67], v18, s[8:11], 0 offen offset:1280// 00000000C214: E07C1500 80024012
	v_add_u32_e32 v18, 0x2000, v18                             // 00000000C21C: 682424FF 00002000
	buffer_store_dwordx4 v[52:55], v18, s[8:11], 0 offen offset:1024// 00000000C224: E07C1400 80023412
	buffer_store_dwordx4 v[68:71], v18, s[8:11], 0 offen offset:1280// 00000000C22C: E07C1500 80024412
	v_add_u32_e32 v18, 0x2000, v18                             // 00000000C234: 682424FF 00002000
	v_mov_b32_e32 v20, v136                                    // 00000000C23C: 7E280388
	v_mov_b32_e32 v21, v140                                    // 00000000C240: 7E2A038C
	v_mov_b32_e32 v22, v144                                    // 00000000C244: 7E2C0390
	v_accvgpr_read_b32 v23, a216                               // 00000000C248: D3D84017 180001D8
	ds_write_b128 v5, v[20:23]                                 // 00000000C250: D9BE0000 00001405
	v_mov_b32_e32 v20, v137                                    // 00000000C258: 7E280389
	v_mov_b32_e32 v21, v141                                    // 00000000C25C: 7E2A038D
	v_mov_b32_e32 v22, v145                                    // 00000000C260: 7E2C0391
	v_accvgpr_read_b32 v23, a217                               // 00000000C264: D3D84017 180001D9
	ds_write_b128 v5, v[20:23] offset:1056                     // 00000000C26C: D9BE0420 00001405
	v_mov_b32_e32 v20, v138                                    // 00000000C274: 7E28038A
	v_mov_b32_e32 v21, v142                                    // 00000000C278: 7E2A038E
	v_mov_b32_e32 v22, v146                                    // 00000000C27C: 7E2C0392
	v_accvgpr_read_b32 v23, a218                               // 00000000C280: D3D84017 180001DA
	ds_write_b128 v5, v[20:23] offset:2112                     // 00000000C288: D9BE0840 00001405
	v_mov_b32_e32 v20, v139                                    // 00000000C290: 7E28038B
	v_mov_b32_e32 v21, v143                                    // 00000000C294: 7E2A038F
	v_mov_b32_e32 v22, v147                                    // 00000000C298: 7E2C0393
	v_accvgpr_read_b32 v23, a219                               // 00000000C29C: D3D84017 180001DB
	ds_write_b128 v5, v[20:23] offset:3168                     // 00000000C2A4: D9BE0C60 00001405
	v_accvgpr_read_b32 v20, a220                               // 00000000C2AC: D3D84014 180001DC
	v_accvgpr_read_b32 v21, a224                               // 00000000C2B4: D3D84015 180001E0
	v_accvgpr_read_b32 v22, a228                               // 00000000C2BC: D3D84016 180001E4
	v_accvgpr_read_b32 v23, a232                               // 00000000C2C4: D3D84017 180001E8
	ds_write_b128 v5, v[20:23] offset:4224                     // 00000000C2CC: D9BE1080 00001405
	v_accvgpr_read_b32 v20, a221                               // 00000000C2D4: D3D84014 180001DD
	v_accvgpr_read_b32 v21, a225                               // 00000000C2DC: D3D84015 180001E1
	v_accvgpr_read_b32 v22, a229                               // 00000000C2E4: D3D84016 180001E5
	v_accvgpr_read_b32 v23, a233                               // 00000000C2EC: D3D84017 180001E9
	ds_write_b128 v5, v[20:23] offset:5280                     // 00000000C2F4: D9BE14A0 00001405
	v_accvgpr_read_b32 v20, a222                               // 00000000C2FC: D3D84014 180001DE
	v_accvgpr_read_b32 v21, a226                               // 00000000C304: D3D84015 180001E2
	v_accvgpr_read_b32 v22, a230                               // 00000000C30C: D3D84016 180001E6
	v_accvgpr_read_b32 v23, a234                               // 00000000C314: D3D84017 180001EA
	ds_write_b128 v5, v[20:23] offset:6336                     // 00000000C31C: D9BE18C0 00001405
	v_accvgpr_read_b32 v20, a223                               // 00000000C324: D3D84014 180001DF
	v_accvgpr_read_b32 v21, a227                               // 00000000C32C: D3D84015 180001E3
	v_accvgpr_read_b32 v22, a231                               // 00000000C334: D3D84016 180001E7
	v_accvgpr_read_b32 v23, a235                               // 00000000C33C: D3D84017 180001EB
	ds_write_b128 v5, v[20:23] offset:7392                     // 00000000C344: D9BE1CE0 00001405
	s_waitcnt lgkmcnt(4)                                       // 00000000C34C: BF8CC47F
	ds_read_b128 v[40:43], v4                                  // 00000000C350: D9FE0000 28000004
	ds_read_b128 v[44:47], v4 offset:64                        // 00000000C358: D9FE0040 2C000004
	ds_read_b128 v[48:51], v4 offset:128                       // 00000000C360: D9FE0080 30000004
	ds_read_b128 v[52:55], v4 offset:192                       // 00000000C368: D9FE00C0 34000004
	s_waitcnt lgkmcnt(4)                                       // 00000000C370: BF8CC47F
	ds_read_b128 v[56:59], v4 offset:4224                      // 00000000C374: D9FE1080 38000004
	ds_read_b128 v[60:63], v4 offset:4288                      // 00000000C37C: D9FE10C0 3C000004
	ds_read_b128 v[64:67], v4 offset:4352                      // 00000000C384: D9FE1100 40000004
	ds_read_b128 v[68:71], v4 offset:4416                      // 00000000C38C: D9FE1140 44000004
	s_waitcnt lgkmcnt(0)                                       // 00000000C394: BF8CC07F
	v_mov_b32_e32 v18, v19                                     // 00000000C398: 7E240313
	buffer_store_dwordx4 v[40:43], v18, s[8:11], 0 offen offset:1536// 00000000C39C: E07C1600 80022812
	buffer_store_dwordx4 v[56:59], v18, s[8:11], 0 offen offset:1792// 00000000C3A4: E07C1700 80023812
	v_add_u32_e32 v18, 0x2000, v18                             // 00000000C3AC: 682424FF 00002000
	buffer_store_dwordx4 v[44:47], v18, s[8:11], 0 offen offset:1536// 00000000C3B4: E07C1600 80022C12
	buffer_store_dwordx4 v[60:63], v18, s[8:11], 0 offen offset:1792// 00000000C3BC: E07C1700 80023C12
	v_add_u32_e32 v18, 0x2000, v18                             // 00000000C3C4: 682424FF 00002000
	buffer_store_dwordx4 v[48:51], v18, s[8:11], 0 offen offset:1536// 00000000C3CC: E07C1600 80023012
	buffer_store_dwordx4 v[64:67], v18, s[8:11], 0 offen offset:1792// 00000000C3D4: E07C1700 80024012
	v_add_u32_e32 v18, 0x2000, v18                             // 00000000C3DC: 682424FF 00002000
	buffer_store_dwordx4 v[52:55], v18, s[8:11], 0 offen offset:1536// 00000000C3E4: E07C1600 80023412
	buffer_store_dwordx4 v[68:71], v18, s[8:11], 0 offen offset:1792// 00000000C3EC: E07C1700 80024412
	v_add_u32_e32 v18, 0x2000, v18                             // 00000000C3F4: 682424FF 00002000
	buffer_store_dword v24, v26, s[12:15], 0 offen             // 00000000C3FC: E0701000 8003181A
	s_mov_b32 s56, 0x100                                       // 00000000C404: BEB800FF 00000100
	v_add_u32_e64 v26, v26, s56                                // 00000000C40C: D134001A 0000711A
	s_mov_b32 s56, 0x20000                                     // 00000000C414: BEB800FF 00020000
	v_add_u32_e64 v19, v19, s56                                // 00000000C41C: D1340013 00007113
	v_mov_b32_e32 v20, v148                                    // 00000000C424: 7E280394
	v_mov_b32_e32 v21, v152                                    // 00000000C428: 7E2A0398
	v_mov_b32_e32 v22, v156                                    // 00000000C42C: 7E2C039C
	v_mov_b32_e32 v23, v160                                    // 00000000C430: 7E2E03A0
	ds_write_b128 v5, v[20:23]                                 // 00000000C434: D9BE0000 00001405
	v_mov_b32_e32 v20, v149                                    // 00000000C43C: 7E280395
	v_mov_b32_e32 v21, v153                                    // 00000000C440: 7E2A0399
	v_mov_b32_e32 v22, v157                                    // 00000000C444: 7E2C039D
	v_mov_b32_e32 v23, v161                                    // 00000000C448: 7E2E03A1
	ds_write_b128 v5, v[20:23] offset:1056                     // 00000000C44C: D9BE0420 00001405
	v_mov_b32_e32 v20, v150                                    // 00000000C454: 7E280396
	v_mov_b32_e32 v21, v154                                    // 00000000C458: 7E2A039A
	v_mov_b32_e32 v22, v158                                    // 00000000C45C: 7E2C039E
	v_mov_b32_e32 v23, v162                                    // 00000000C460: 7E2E03A2
	ds_write_b128 v5, v[20:23] offset:2112                     // 00000000C464: D9BE0840 00001405
	v_mov_b32_e32 v20, v151                                    // 00000000C46C: 7E280397
	v_mov_b32_e32 v21, v155                                    // 00000000C470: 7E2A039B
	v_mov_b32_e32 v22, v159                                    // 00000000C474: 7E2C039F
	v_mov_b32_e32 v23, v163                                    // 00000000C478: 7E2E03A3
	ds_write_b128 v5, v[20:23] offset:3168                     // 00000000C47C: D9BE0C60 00001405
	v_mov_b32_e32 v20, v164                                    // 00000000C484: 7E2803A4
	v_mov_b32_e32 v21, v168                                    // 00000000C488: 7E2A03A8
	v_mov_b32_e32 v22, v172                                    // 00000000C48C: 7E2C03AC
	v_mov_b32_e32 v23, v176                                    // 00000000C490: 7E2E03B0
	ds_write_b128 v5, v[20:23] offset:4224                     // 00000000C494: D9BE1080 00001405
	v_mov_b32_e32 v20, v165                                    // 00000000C49C: 7E2803A5
	v_mov_b32_e32 v21, v169                                    // 00000000C4A0: 7E2A03A9
	v_mov_b32_e32 v22, v173                                    // 00000000C4A4: 7E2C03AD
	v_mov_b32_e32 v23, v177                                    // 00000000C4A8: 7E2E03B1
	ds_write_b128 v5, v[20:23] offset:5280                     // 00000000C4AC: D9BE14A0 00001405
	v_mov_b32_e32 v20, v166                                    // 00000000C4B4: 7E2803A6
	v_mov_b32_e32 v21, v170                                    // 00000000C4B8: 7E2A03AA
	v_mov_b32_e32 v22, v174                                    // 00000000C4BC: 7E2C03AE
	v_mov_b32_e32 v23, v178                                    // 00000000C4C0: 7E2E03B2
	ds_write_b128 v5, v[20:23] offset:6336                     // 00000000C4C4: D9BE18C0 00001405
	v_mov_b32_e32 v20, v167                                    // 00000000C4CC: 7E2803A7
	v_mov_b32_e32 v21, v171                                    // 00000000C4D0: 7E2A03AB
	v_mov_b32_e32 v22, v175                                    // 00000000C4D4: 7E2C03AF
	v_mov_b32_e32 v23, v179                                    // 00000000C4D8: 7E2E03B3
	ds_write_b128 v5, v[20:23] offset:7392                     // 00000000C4DC: D9BE1CE0 00001405
	s_waitcnt lgkmcnt(4)                                       // 00000000C4E4: BF8CC47F
	ds_read_b128 v[40:43], v4                                  // 00000000C4E8: D9FE0000 28000004
	ds_read_b128 v[44:47], v4 offset:64                        // 00000000C4F0: D9FE0040 2C000004
	ds_read_b128 v[48:51], v4 offset:128                       // 00000000C4F8: D9FE0080 30000004
	ds_read_b128 v[52:55], v4 offset:192                       // 00000000C500: D9FE00C0 34000004
	s_waitcnt lgkmcnt(4)                                       // 00000000C508: BF8CC47F
	ds_read_b128 v[56:59], v4 offset:4224                      // 00000000C50C: D9FE1080 38000004
	ds_read_b128 v[60:63], v4 offset:4288                      // 00000000C514: D9FE10C0 3C000004
	ds_read_b128 v[64:67], v4 offset:4352                      // 00000000C51C: D9FE1100 40000004
	ds_read_b128 v[68:71], v4 offset:4416                      // 00000000C524: D9FE1140 44000004
	s_waitcnt lgkmcnt(0)                                       // 00000000C52C: BF8CC07F
	v_mov_b32_e32 v18, v19                                     // 00000000C530: 7E240313
	buffer_store_dwordx4 v[40:43], v18, s[8:11], 0 offen       // 00000000C534: E07C1000 80022812
	buffer_store_dwordx4 v[56:59], v18, s[8:11], 0 offen offset:256// 00000000C53C: E07C1100 80023812
	v_add_u32_e32 v18, 0x2000, v18                             // 00000000C544: 682424FF 00002000
	buffer_store_dwordx4 v[44:47], v18, s[8:11], 0 offen       // 00000000C54C: E07C1000 80022C12
	buffer_store_dwordx4 v[60:63], v18, s[8:11], 0 offen offset:256// 00000000C554: E07C1100 80023C12
	v_add_u32_e32 v18, 0x2000, v18                             // 00000000C55C: 682424FF 00002000
	buffer_store_dwordx4 v[48:51], v18, s[8:11], 0 offen       // 00000000C564: E07C1000 80023012
	buffer_store_dwordx4 v[64:67], v18, s[8:11], 0 offen offset:256// 00000000C56C: E07C1100 80024012
	v_add_u32_e32 v18, 0x2000, v18                             // 00000000C574: 682424FF 00002000
	buffer_store_dwordx4 v[52:55], v18, s[8:11], 0 offen       // 00000000C57C: E07C1000 80023412
	buffer_store_dwordx4 v[68:71], v18, s[8:11], 0 offen offset:256// 00000000C584: E07C1100 80024412
	v_add_u32_e32 v18, 0x2000, v18                             // 00000000C58C: 682424FF 00002000
	v_mov_b32_e32 v20, v180                                    // 00000000C594: 7E2803B4
	v_mov_b32_e32 v21, v184                                    // 00000000C598: 7E2A03B8
	v_mov_b32_e32 v22, v188                                    // 00000000C59C: 7E2C03BC
	v_mov_b32_e32 v23, v192                                    // 00000000C5A0: 7E2E03C0
	ds_write_b128 v5, v[20:23]                                 // 00000000C5A4: D9BE0000 00001405
	v_mov_b32_e32 v20, v181                                    // 00000000C5AC: 7E2803B5
	v_mov_b32_e32 v21, v185                                    // 00000000C5B0: 7E2A03B9
	v_mov_b32_e32 v22, v189                                    // 00000000C5B4: 7E2C03BD
	v_mov_b32_e32 v23, v193                                    // 00000000C5B8: 7E2E03C1
	ds_write_b128 v5, v[20:23] offset:1056                     // 00000000C5BC: D9BE0420 00001405
	v_mov_b32_e32 v20, v182                                    // 00000000C5C4: 7E2803B6
	v_mov_b32_e32 v21, v186                                    // 00000000C5C8: 7E2A03BA
	v_mov_b32_e32 v22, v190                                    // 00000000C5CC: 7E2C03BE
	v_mov_b32_e32 v23, v194                                    // 00000000C5D0: 7E2E03C2
	ds_write_b128 v5, v[20:23] offset:2112                     // 00000000C5D4: D9BE0840 00001405
	v_mov_b32_e32 v20, v183                                    // 00000000C5DC: 7E2803B7
	v_mov_b32_e32 v21, v187                                    // 00000000C5E0: 7E2A03BB
	v_mov_b32_e32 v22, v191                                    // 00000000C5E4: 7E2C03BF
	v_mov_b32_e32 v23, v195                                    // 00000000C5E8: 7E2E03C3
	ds_write_b128 v5, v[20:23] offset:3168                     // 00000000C5EC: D9BE0C60 00001405
	v_mov_b32_e32 v20, v196                                    // 00000000C5F4: 7E2803C4
	v_mov_b32_e32 v21, v200                                    // 00000000C5F8: 7E2A03C8
	v_mov_b32_e32 v22, v204                                    // 00000000C5FC: 7E2C03CC
	v_mov_b32_e32 v23, v208                                    // 00000000C600: 7E2E03D0
	ds_write_b128 v5, v[20:23] offset:4224                     // 00000000C604: D9BE1080 00001405
	v_mov_b32_e32 v20, v197                                    // 00000000C60C: 7E2803C5
	v_mov_b32_e32 v21, v201                                    // 00000000C610: 7E2A03C9
	v_mov_b32_e32 v22, v205                                    // 00000000C614: 7E2C03CD
	v_mov_b32_e32 v23, v209                                    // 00000000C618: 7E2E03D1
	ds_write_b128 v5, v[20:23] offset:5280                     // 00000000C61C: D9BE14A0 00001405
	v_mov_b32_e32 v20, v198                                    // 00000000C624: 7E2803C6
	v_mov_b32_e32 v21, v202                                    // 00000000C628: 7E2A03CA
	v_mov_b32_e32 v22, v206                                    // 00000000C62C: 7E2C03CE
	v_mov_b32_e32 v23, v210                                    // 00000000C630: 7E2E03D2
	ds_write_b128 v5, v[20:23] offset:6336                     // 00000000C634: D9BE18C0 00001405
	v_mov_b32_e32 v20, v199                                    // 00000000C63C: 7E2803C7
	v_mov_b32_e32 v21, v203                                    // 00000000C640: 7E2A03CB
	v_mov_b32_e32 v22, v207                                    // 00000000C644: 7E2C03CF
	v_mov_b32_e32 v23, v211                                    // 00000000C648: 7E2E03D3
	ds_write_b128 v5, v[20:23] offset:7392                     // 00000000C64C: D9BE1CE0 00001405
	s_waitcnt lgkmcnt(4)                                       // 00000000C654: BF8CC47F
	ds_read_b128 v[40:43], v4                                  // 00000000C658: D9FE0000 28000004
	ds_read_b128 v[44:47], v4 offset:64                        // 00000000C660: D9FE0040 2C000004
	ds_read_b128 v[48:51], v4 offset:128                       // 00000000C668: D9FE0080 30000004
	ds_read_b128 v[52:55], v4 offset:192                       // 00000000C670: D9FE00C0 34000004
	s_waitcnt lgkmcnt(4)                                       // 00000000C678: BF8CC47F
	ds_read_b128 v[56:59], v4 offset:4224                      // 00000000C67C: D9FE1080 38000004
	ds_read_b128 v[60:63], v4 offset:4288                      // 00000000C684: D9FE10C0 3C000004
	ds_read_b128 v[64:67], v4 offset:4352                      // 00000000C68C: D9FE1100 40000004
	ds_read_b128 v[68:71], v4 offset:4416                      // 00000000C694: D9FE1140 44000004
	s_waitcnt lgkmcnt(0)                                       // 00000000C69C: BF8CC07F
	v_mov_b32_e32 v18, v19                                     // 00000000C6A0: 7E240313
	buffer_store_dwordx4 v[40:43], v18, s[8:11], 0 offen offset:512// 00000000C6A4: E07C1200 80022812
	buffer_store_dwordx4 v[56:59], v18, s[8:11], 0 offen offset:768// 00000000C6AC: E07C1300 80023812
	v_add_u32_e32 v18, 0x2000, v18                             // 00000000C6B4: 682424FF 00002000
	buffer_store_dwordx4 v[44:47], v18, s[8:11], 0 offen offset:512// 00000000C6BC: E07C1200 80022C12
	buffer_store_dwordx4 v[60:63], v18, s[8:11], 0 offen offset:768// 00000000C6C4: E07C1300 80023C12
	v_add_u32_e32 v18, 0x2000, v18                             // 00000000C6CC: 682424FF 00002000
	buffer_store_dwordx4 v[48:51], v18, s[8:11], 0 offen offset:512// 00000000C6D4: E07C1200 80023012
	buffer_store_dwordx4 v[64:67], v18, s[8:11], 0 offen offset:768// 00000000C6DC: E07C1300 80024012
	v_add_u32_e32 v18, 0x2000, v18                             // 00000000C6E4: 682424FF 00002000
	buffer_store_dwordx4 v[52:55], v18, s[8:11], 0 offen offset:512// 00000000C6EC: E07C1200 80023412
	buffer_store_dwordx4 v[68:71], v18, s[8:11], 0 offen offset:768// 00000000C6F4: E07C1300 80024412
	v_add_u32_e32 v18, 0x2000, v18                             // 00000000C6FC: 682424FF 00002000
	v_mov_b32_e32 v20, v212                                    // 00000000C704: 7E2803D4
	v_mov_b32_e32 v21, v216                                    // 00000000C708: 7E2A03D8
	v_mov_b32_e32 v22, v220                                    // 00000000C70C: 7E2C03DC
	v_mov_b32_e32 v23, v224                                    // 00000000C710: 7E2E03E0
	ds_write_b128 v5, v[20:23]                                 // 00000000C714: D9BE0000 00001405
	v_mov_b32_e32 v20, v213                                    // 00000000C71C: 7E2803D5
	v_mov_b32_e32 v21, v217                                    // 00000000C720: 7E2A03D9
	v_mov_b32_e32 v22, v221                                    // 00000000C724: 7E2C03DD
	v_mov_b32_e32 v23, v225                                    // 00000000C728: 7E2E03E1
	ds_write_b128 v5, v[20:23] offset:1056                     // 00000000C72C: D9BE0420 00001405
	v_mov_b32_e32 v20, v214                                    // 00000000C734: 7E2803D6
	v_mov_b32_e32 v21, v218                                    // 00000000C738: 7E2A03DA
	v_mov_b32_e32 v22, v222                                    // 00000000C73C: 7E2C03DE
	v_mov_b32_e32 v23, v226                                    // 00000000C740: 7E2E03E2
	ds_write_b128 v5, v[20:23] offset:2112                     // 00000000C744: D9BE0840 00001405
	v_mov_b32_e32 v20, v215                                    // 00000000C74C: 7E2803D7
	v_mov_b32_e32 v21, v219                                    // 00000000C750: 7E2A03DB
	v_mov_b32_e32 v22, v223                                    // 00000000C754: 7E2C03DF
	v_mov_b32_e32 v23, v227                                    // 00000000C758: 7E2E03E3
	ds_write_b128 v5, v[20:23] offset:3168                     // 00000000C75C: D9BE0C60 00001405
	v_mov_b32_e32 v20, v228                                    // 00000000C764: 7E2803E4
	v_mov_b32_e32 v21, v232                                    // 00000000C768: 7E2A03E8
	v_mov_b32_e32 v22, v236                                    // 00000000C76C: 7E2C03EC
	v_mov_b32_e32 v23, v240                                    // 00000000C770: 7E2E03F0
	ds_write_b128 v5, v[20:23] offset:4224                     // 00000000C774: D9BE1080 00001405
	v_mov_b32_e32 v20, v229                                    // 00000000C77C: 7E2803E5
	v_mov_b32_e32 v21, v233                                    // 00000000C780: 7E2A03E9
	v_mov_b32_e32 v22, v237                                    // 00000000C784: 7E2C03ED
	v_mov_b32_e32 v23, v241                                    // 00000000C788: 7E2E03F1
	ds_write_b128 v5, v[20:23] offset:5280                     // 00000000C78C: D9BE14A0 00001405
	v_mov_b32_e32 v20, v230                                    // 00000000C794: 7E2803E6
	v_mov_b32_e32 v21, v234                                    // 00000000C798: 7E2A03EA
	v_mov_b32_e32 v22, v238                                    // 00000000C79C: 7E2C03EE
	v_mov_b32_e32 v23, v242                                    // 00000000C7A0: 7E2E03F2
	ds_write_b128 v5, v[20:23] offset:6336                     // 00000000C7A4: D9BE18C0 00001405
	v_mov_b32_e32 v20, v231                                    // 00000000C7AC: 7E2803E7
	v_mov_b32_e32 v21, v235                                    // 00000000C7B0: 7E2A03EB
	v_mov_b32_e32 v22, v239                                    // 00000000C7B4: 7E2C03EF
	v_mov_b32_e32 v23, v243                                    // 00000000C7B8: 7E2E03F3
	ds_write_b128 v5, v[20:23] offset:7392                     // 00000000C7BC: D9BE1CE0 00001405
	s_waitcnt lgkmcnt(4)                                       // 00000000C7C4: BF8CC47F
	ds_read_b128 v[40:43], v4                                  // 00000000C7C8: D9FE0000 28000004
	ds_read_b128 v[44:47], v4 offset:64                        // 00000000C7D0: D9FE0040 2C000004
	ds_read_b128 v[48:51], v4 offset:128                       // 00000000C7D8: D9FE0080 30000004
	ds_read_b128 v[52:55], v4 offset:192                       // 00000000C7E0: D9FE00C0 34000004
	s_waitcnt lgkmcnt(4)                                       // 00000000C7E8: BF8CC47F
	ds_read_b128 v[56:59], v4 offset:4224                      // 00000000C7EC: D9FE1080 38000004
	ds_read_b128 v[60:63], v4 offset:4288                      // 00000000C7F4: D9FE10C0 3C000004
	ds_read_b128 v[64:67], v4 offset:4352                      // 00000000C7FC: D9FE1100 40000004
	ds_read_b128 v[68:71], v4 offset:4416                      // 00000000C804: D9FE1140 44000004
	s_waitcnt lgkmcnt(0)                                       // 00000000C80C: BF8CC07F
	v_mov_b32_e32 v18, v19                                     // 00000000C810: 7E240313
	buffer_store_dwordx4 v[40:43], v18, s[8:11], 0 offen offset:1024// 00000000C814: E07C1400 80022812
	buffer_store_dwordx4 v[56:59], v18, s[8:11], 0 offen offset:1280// 00000000C81C: E07C1500 80023812
	v_add_u32_e32 v18, 0x2000, v18                             // 00000000C824: 682424FF 00002000
	buffer_store_dwordx4 v[44:47], v18, s[8:11], 0 offen offset:1024// 00000000C82C: E07C1400 80022C12
	buffer_store_dwordx4 v[60:63], v18, s[8:11], 0 offen offset:1280// 00000000C834: E07C1500 80023C12
	v_add_u32_e32 v18, 0x2000, v18                             // 00000000C83C: 682424FF 00002000
	buffer_store_dwordx4 v[48:51], v18, s[8:11], 0 offen offset:1024// 00000000C844: E07C1400 80023012
	buffer_store_dwordx4 v[64:67], v18, s[8:11], 0 offen offset:1280// 00000000C84C: E07C1500 80024012
	v_add_u32_e32 v18, 0x2000, v18                             // 00000000C854: 682424FF 00002000
	buffer_store_dwordx4 v[52:55], v18, s[8:11], 0 offen offset:1024// 00000000C85C: E07C1400 80023412
	buffer_store_dwordx4 v[68:71], v18, s[8:11], 0 offen offset:1280// 00000000C864: E07C1500 80024412
	v_add_u32_e32 v18, 0x2000, v18                             // 00000000C86C: 682424FF 00002000
	v_mov_b32_e32 v20, v244                                    // 00000000C874: 7E2803F4
	v_mov_b32_e32 v21, v248                                    // 00000000C878: 7E2A03F8
	v_mov_b32_e32 v22, v252                                    // 00000000C87C: 7E2C03FC
	v_accvgpr_read_b32 v23, a236                               // 00000000C880: D3D84017 180001EC
	ds_write_b128 v5, v[20:23]                                 // 00000000C888: D9BE0000 00001405
	v_mov_b32_e32 v20, v245                                    // 00000000C890: 7E2803F5
	v_mov_b32_e32 v21, v249                                    // 00000000C894: 7E2A03F9
	v_mov_b32_e32 v22, v253                                    // 00000000C898: 7E2C03FD
	v_accvgpr_read_b32 v23, a237                               // 00000000C89C: D3D84017 180001ED
	ds_write_b128 v5, v[20:23] offset:1056                     // 00000000C8A4: D9BE0420 00001405
	v_mov_b32_e32 v20, v246                                    // 00000000C8AC: 7E2803F6
	v_mov_b32_e32 v21, v250                                    // 00000000C8B0: 7E2A03FA
	v_mov_b32_e32 v22, v254                                    // 00000000C8B4: 7E2C03FE
	v_accvgpr_read_b32 v23, a238                               // 00000000C8B8: D3D84017 180001EE
	ds_write_b128 v5, v[20:23] offset:2112                     // 00000000C8C0: D9BE0840 00001405
	v_mov_b32_e32 v20, v247                                    // 00000000C8C8: 7E2803F7
	v_mov_b32_e32 v21, v251                                    // 00000000C8CC: 7E2A03FB
	v_mov_b32_e32 v22, v255                                    // 00000000C8D0: 7E2C03FF
	v_accvgpr_read_b32 v23, a239                               // 00000000C8D4: D3D84017 180001EF
	ds_write_b128 v5, v[20:23] offset:3168                     // 00000000C8DC: D9BE0C60 00001405
	v_accvgpr_read_b32 v20, a240                               // 00000000C8E4: D3D84014 180001F0
	v_accvgpr_read_b32 v21, a244                               // 00000000C8EC: D3D84015 180001F4
	v_accvgpr_read_b32 v22, a248                               // 00000000C8F4: D3D84016 180001F8
	v_accvgpr_read_b32 v23, a252                               // 00000000C8FC: D3D84017 180001FC
	ds_write_b128 v5, v[20:23] offset:4224                     // 00000000C904: D9BE1080 00001405
	v_accvgpr_read_b32 v20, a241                               // 00000000C90C: D3D84014 180001F1
	v_accvgpr_read_b32 v21, a245                               // 00000000C914: D3D84015 180001F5
	v_accvgpr_read_b32 v22, a249                               // 00000000C91C: D3D84016 180001F9
	v_accvgpr_read_b32 v23, a253                               // 00000000C924: D3D84017 180001FD
	ds_write_b128 v5, v[20:23] offset:5280                     // 00000000C92C: D9BE14A0 00001405
	v_accvgpr_read_b32 v20, a242                               // 00000000C934: D3D84014 180001F2
	v_accvgpr_read_b32 v21, a246                               // 00000000C93C: D3D84015 180001F6
	v_accvgpr_read_b32 v22, a250                               // 00000000C944: D3D84016 180001FA
	v_accvgpr_read_b32 v23, a254                               // 00000000C94C: D3D84017 180001FE
	ds_write_b128 v5, v[20:23] offset:6336                     // 00000000C954: D9BE18C0 00001405
	v_accvgpr_read_b32 v20, a243                               // 00000000C95C: D3D84014 180001F3
	v_accvgpr_read_b32 v21, a247                               // 00000000C964: D3D84015 180001F7
	v_accvgpr_read_b32 v22, a251                               // 00000000C96C: D3D84016 180001FB
	v_accvgpr_read_b32 v23, a255                               // 00000000C974: D3D84017 180001FF
	ds_write_b128 v5, v[20:23] offset:7392                     // 00000000C97C: D9BE1CE0 00001405
	s_waitcnt lgkmcnt(4)                                       // 00000000C984: BF8CC47F
	ds_read_b128 v[40:43], v4                                  // 00000000C988: D9FE0000 28000004
	ds_read_b128 v[44:47], v4 offset:64                        // 00000000C990: D9FE0040 2C000004
	ds_read_b128 v[48:51], v4 offset:128                       // 00000000C998: D9FE0080 30000004
	ds_read_b128 v[52:55], v4 offset:192                       // 00000000C9A0: D9FE00C0 34000004
	s_waitcnt lgkmcnt(4)                                       // 00000000C9A8: BF8CC47F
	ds_read_b128 v[56:59], v4 offset:4224                      // 00000000C9AC: D9FE1080 38000004
	ds_read_b128 v[60:63], v4 offset:4288                      // 00000000C9B4: D9FE10C0 3C000004
	ds_read_b128 v[64:67], v4 offset:4352                      // 00000000C9BC: D9FE1100 40000004
	ds_read_b128 v[68:71], v4 offset:4416                      // 00000000C9C4: D9FE1140 44000004
	s_waitcnt lgkmcnt(0)                                       // 00000000C9CC: BF8CC07F
	v_mov_b32_e32 v18, v19                                     // 00000000C9D0: 7E240313
	buffer_store_dwordx4 v[40:43], v18, s[8:11], 0 offen offset:1536// 00000000C9D4: E07C1600 80022812
	buffer_store_dwordx4 v[56:59], v18, s[8:11], 0 offen offset:1792// 00000000C9DC: E07C1700 80023812
	v_add_u32_e32 v18, 0x2000, v18                             // 00000000C9E4: 682424FF 00002000
	buffer_store_dwordx4 v[44:47], v18, s[8:11], 0 offen offset:1536// 00000000C9EC: E07C1600 80022C12
	buffer_store_dwordx4 v[60:63], v18, s[8:11], 0 offen offset:1792// 00000000C9F4: E07C1700 80023C12
	v_add_u32_e32 v18, 0x2000, v18                             // 00000000C9FC: 682424FF 00002000
	buffer_store_dwordx4 v[48:51], v18, s[8:11], 0 offen offset:1536// 00000000CA04: E07C1600 80023012
	buffer_store_dwordx4 v[64:67], v18, s[8:11], 0 offen offset:1792// 00000000CA0C: E07C1700 80024012
	v_add_u32_e32 v18, 0x2000, v18                             // 00000000CA14: 682424FF 00002000
	buffer_store_dwordx4 v[52:55], v18, s[8:11], 0 offen offset:1536// 00000000CA1C: E07C1600 80023412
	buffer_store_dwordx4 v[68:71], v18, s[8:11], 0 offen offset:1792// 00000000CA24: E07C1700 80024412
	v_add_u32_e32 v18, 0x2000, v18                             // 00000000CA2C: 682424FF 00002000
	buffer_store_dword v25, v26, s[12:15], 0 offen             // 00000000CA34: E0701000 8003191A
	s_mov_b32 s56, 0x100                                       // 00000000CA3C: BEB800FF 00000100
	v_add_u32_e64 v26, v26, s56                                // 00000000CA44: D134001A 0000711A

000000000000ca4c <label_2E93>:
	s_waitcnt vmcnt(0) expcnt(0) lgkmcnt(0)                    // 00000000CA4C: BF8C0000
	s_endpgm                                                   // 00000000CA50: BF810000
